;; amdgpu-corpus repo=ROCm/aiter kind=harvested arch=n/a opt=n/a

/root/src/amdgpu-assembly/repos/ROCm__aiter/hsa/gfx942/mla/mla_a8w8_qh8_qseqlen1_gqaratio8_v1.co:	file format elf64-amdgpu

Disassembly of section .text:

0000000000001e00 <_ZN5aiter35mla_a8w8_qh8_qseqlen1_gqaratio8_v1E>:
	s_and_b32 s1, s1, 0xffff                                   // 000000001E00: 8601FF01 0000FFFF
	s_load_dwordx2 s[8:9], s[0:1], 0x0                         // 000000001E08: C0060200 00000000
	s_load_dwordx2 s[12:13], s[0:1], 0x10                      // 000000001E10: C0060300 00000010
	s_load_dwordx2 s[16:17], s[0:1], 0x20                      // 000000001E18: C0060400 00000020
	s_load_dwordx2 s[20:21], s[0:1], 0x30                      // 000000001E20: C0060500 00000030
	s_load_dwordx2 s[28:29], s[0:1], 0x40                      // 000000001E28: C0060700 00000040
	s_load_dwordx2 s[24:25], s[0:1], 0x50                      // 000000001E30: C0060600 00000050
	s_load_dwordx2 s[30:31], s[0:1], 0x60                      // 000000001E38: C0060780 00000060
	s_load_dword s64, s[0:1], 0x70                             // 000000001E40: C0021000 00000070
	s_load_dword s65, s[0:1], 0x80                             // 000000001E48: C0021040 00000080
	s_load_dword s67, s[0:1], 0x90                             // 000000001E50: C00210C0 00000090
	s_load_dword s66, s[0:1], 0xa0                             // 000000001E58: C0021080 000000A0
	s_load_dword s68, s[0:1], 0xb0                             // 000000001E60: C0021100 000000B0
	s_load_dword s69, s[0:1], 0xc0                             // 000000001E68: C0021140 000000C0
	s_load_dwordx2 s[36:37], s[0:1], 0xd0                      // 000000001E70: C0060900 000000D0
	s_load_dwordx2 s[40:41], s[0:1], 0x100                     // 000000001E78: C0060A00 00000100
	s_load_dwordx2 s[42:43], s[0:1], 0x110                     // 000000001E80: C0060A80 00000110
	v_lshrrev_b32_e32 v1, 10, v0                               // 000000001E88: 2002008A
	v_lshrrev_b32_e32 v2, 10, v1                               // 000000001E8C: 2004028A
	v_and_b32_e32 v2, 0x3ff, v2                                // 000000001E90: 260404FF 000003FF
	v_and_b32_e32 v1, 0x3ff, v1                                // 000000001E98: 260202FF 000003FF
	v_and_b32_e32 v0, 0x3ff, v0                                // 000000001EA0: 260000FF 000003FF
	v_lshrrev_b32_e32 v3, 6, v0                                // 000000001EA8: 20060086
	v_and_b32_e32 v0, 63, v0                                   // 000000001EAC: 260000BF
	s_mov_b32 s2, s2                                           // 000000001EB0: BE820002
	s_mov_b32 s3, s3                                           // 000000001EB4: BE830003
	s_mov_b32 s4, s4                                           // 000000001EB8: BE840004
	v_readfirstlane_b32 s7, v3                                 // 000000001EBC: 7E0E0503
	s_waitcnt lgkmcnt(0)                                       // 000000001EC0: BF8CC07F
	s_min_u32 s76, 8, s65                                      // 000000001EC4: 83CC4188
	s_mul_i32 s56, s3, 4                                       // 000000001EC8: 92388403
	s_and_b32 s29, s29, 0xffff                                 // 000000001ECC: 861DFF1D 0000FFFF
	s_and_b32 s31, s31, 0xffff                                 // 000000001ED4: 861FFF1F 0000FFFF
	s_add_u32 s28, s56, s28                                    // 000000001EDC: 801C1C38
	s_addc_u32 s29, 0, s29                                     // 000000001EE0: 821D1D80
	s_load_dword s47, s[28:29], 0x0                            // 000000001EE4: C0020BCE 00000000
	s_load_dword s46, s[28:29], 0x4                            // 000000001EEC: C0020B8E 00000004
	s_and_b32 s41, s41, 0xffff                                 // 000000001EF4: 8629FF29 0000FFFF
	s_and_b32 s43, s43, 0xffff                                 // 000000001EFC: 862BFF2B 0000FFFF
	s_load_dword s60, s[40:41], 0x0                            // 000000001F04: C0020F14 00000000
	s_load_dword s61, s[42:43], 0x0                            // 000000001F0C: C0020F55 00000000
	s_mul_i32 s75, 0x800, s65                                  // 000000001F14: 924B41FF 00000800
	s_mul_i32 s74, 0x240, s65                                  // 000000001F1C: 924A41FF 00000240
	s_mul_i32 s56, 4, s65                                      // 000000001F24: 92384184
	s_mov_b32 s10, s75                                         // 000000001F28: BE8A004B
	s_mov_b32 s18, s74                                         // 000000001F2C: BE92004A
	s_mov_b32 s14, s56                                         // 000000001F30: BE8E0038
	s_mov_b32 s22, -16                                         // 000000001F34: BE9600D0
	s_mov_b32 s26, -16                                         // 000000001F38: BE9A00D0
	s_mov_b32 s11, 0x20000                                     // 000000001F3C: BE8B00FF 00020000
	s_mov_b32 s19, 0x20000                                     // 000000001F44: BE9300FF 00020000
	s_mov_b32 s15, 0x20000                                     // 000000001F4C: BE8F00FF 00020000
	s_mov_b32 s23, 0x20000                                     // 000000001F54: BE9700FF 00020000
	s_mov_b32 s27, 0x20000                                     // 000000001F5C: BE9B00FF 00020000
	s_and_b32 s9, s9, 0xffff                                   // 000000001F64: 8609FF09 0000FFFF
	s_and_b32 s17, s17, 0xffff                                 // 000000001F6C: 8611FF11 0000FFFF
	s_and_b32 s13, s13, 0xffff                                 // 000000001F74: 860DFF0D 0000FFFF
	s_and_b32 s21, s21, 0xffff                                 // 000000001F7C: 8615FF15 0000FFFF
	s_and_b32 s25, s25, 0xffff                                 // 000000001F84: 8619FF19 0000FFFF
	s_or_b32 s9, s9, 0x40000                                   // 000000001F8C: 8709FF09 00040000
	s_or_b32 s17, s17, 0x40000                                 // 000000001F94: 8711FF11 00040000
	s_or_b32 s13, s13, 0x40000                                 // 000000001F9C: 870DFF0D 00040000
	s_or_b32 s21, s21, 0x40000                                 // 000000001FA4: 8715FF15 00040000
	s_or_b32 s25, s25, 0x40000                                 // 000000001FAC: 8719FF19 00040000
	s_waitcnt lgkmcnt(0)                                       // 000000001FB4: BF8CC07F
	s_mov_b32 s69, 0                                           // 000000001FB8: BEC50080
	s_lshr_b32 s44, 64, s69                                    // 000000001FBC: 8F2C45C0
	s_mul_i32 s73, s44, 4                                      // 000000001FC0: 9249842C
	s_mul_i32 s73, s73, s67                                    // 000000001FC4: 92494349
	s_mul_i32 s45, s4, s44                                     // 000000001FC8: 922D2C04
	s_sub_u32 s50, s46, s47                                    // 000000001FCC: 80B22F2E
	s_mul_i32 s56, s67, s75                                    // 000000001FD0: 92384B43
	s_mul_i32 s56, s3, s56                                     // 000000001FD4: 92383803
	s_mul_i32 s57, s4, s75                                     // 000000001FD8: 92394B04
	s_add_u32 s56, s57, s56                                    // 000000001FDC: 80383839
	s_add_u32 s8, s56, s8                                      // 000000001FE0: 80080838
	s_addc_u32 s9, 0, s9                                       // 000000001FE4: 82090980
	s_mul_i32 s56, s7, 0x200                                   // 000000001FE8: 9238FF07 00000200
	v_lshlrev_b32_e32 v17, 3, v0                               // 000000001FF0: 24220083
	v_add_u32_e64 v17, v17, s56                                // 000000001FF4: D1340011 00007111
	s_mul_i32 s56, 0x800, s76                                  // 000000001FFC: 92384CFF 00000800
	s_mul_i32 s56, s2, s56                                     // 000000002004: 92383802
	v_add_u32_e64 v17, v17, s56                                // 000000002008: D1340011 00007111
	s_mul_i32 s58, 4, s65                                      // 000000002010: 923A4184
	s_mul_i32 s56, s67, s58                                    // 000000002014: 92383A43
	s_mul_i32 s56, s3, s56                                     // 000000002018: 92383803
	s_mul_i32 s57, s4, s58                                     // 00000000201C: 92393A04
	s_add_u32 s56, s57, s56                                    // 000000002020: 80383839
	s_add_u32 s12, s56, s12                                    // 000000002024: 800C0C38
	s_addc_u32 s13, 0, s13                                     // 000000002028: 820D0D80
	s_mul_i32 s56, 4, s76                                      // 00000000202C: 92384C84
	s_mul_i32 s56, s2, s56                                     // 000000002030: 92383802
	v_lshlrev_b32_e32 v16, 2, v0                               // 000000002034: 24200082
	v_add_u32_e64 v16, v16, s56                                // 000000002038: D1340010 00007110
	s_cmp_le_u32 s50, s45                                      // 000000002040: BF0B2D32
	s_cbranch_scc1 label_code_exit                             // 000000002044: BF851256
	s_mul_i32 s56, s50, 4                                      // 000000002048: 92388432
	s_mov_b32 s26, s56                                         // 00000000204C: BE9A0038
	s_mul_i32 s56, s47, 4                                      // 000000002050: 9238842F
	s_add_u32 s24, s56, s24                                    // 000000002054: 80181838
	s_addc_u32 s25, 0, s25                                     // 000000002058: 82191980
	s_mov_b32 s70, 0                                           // 00000000205C: BEC60080
	s_sub_u32 s71, s50, s45                                    // 000000002060: 80C72D32
	s_mul_i32 s33, s67, s44                                    // 000000002064: 92212C43
	s_mov_b32 s32, s71                                         // 000000002068: BEA00047
	v_cvt_f32_u32_e32 v32, s33                                 // 00000000206C: 7E400C21
	s_sub_i32 s56, 0, s33                                      // 000000002070: 81B82180
	v_rcp_iflag_f32_e32 v32, v32                               // 000000002074: 7E404720
	s_nop 0                                                    // 000000002078: BF800000
	v_mul_f32_e32 v32, 0x4f7ffffe, v32                         // 00000000207C: 0A4040FF 4F7FFFFE
	v_cvt_u32_f32_e32 v32, v32                                 // 000000002084: 7E400F20
	v_mul_lo_u32 v33, s56, v32                                 // 000000002088: D2850021 00024038
	v_mul_hi_u32 v33, v32, v33                                 // 000000002090: D2860021 00024320
	v_add_u32_e32 v32, v32, v33                                // 000000002098: 68404320
	v_mul_hi_u32 v32, s32, v32                                 // 00000000209C: D2860020 00024020
	v_mul_lo_u32 v33, v32, s33                                 // 0000000020A4: D2850021 00004320
	v_sub_u32_e32 v35, s32, v33                                // 0000000020AC: 6A464220
	v_add_u32_e32 v34, 1, v32                                  // 0000000020B0: 68444081
	v_cmp_le_u32_e32 vcc, s33, v35                             // 0000000020B4: 7D964621
	v_subrev_u32_e32 v33, s33, v35                             // 0000000020B8: 6C424621
	s_nop 0                                                    // 0000000020BC: BF800000
	v_cndmask_b32_e32 v32, v32, v34, vcc                       // 0000000020C0: 00404520
	v_cndmask_b32_e32 v35, v35, v33, vcc                       // 0000000020C4: 00464323
	v_add_u32_e32 v33, 1, v32                                  // 0000000020C8: 68424081
	v_cmp_le_u32_e32 vcc, s33, v35                             // 0000000020CC: 7D964621
	s_nop 1                                                    // 0000000020D0: BF800001
	v_cndmask_b32_e32 v35, v32, v33, vcc                       // 0000000020D4: 00464320
	s_nop 3                                                    // 0000000020D8: BF800003
	v_readfirstlane_b32 s34, v35                               // 0000000020DC: 7E440523
	s_nop 3                                                    // 0000000020E0: BF800003
	s_mov_b32 s71, s34                                         // 0000000020E4: BEC70022
	s_mul_i32 s56, s71, s33                                    // 0000000020E8: 92382147
	s_sub_u32 s56, s32, s56                                    // 0000000020EC: 80B83820
	s_mov_b32 s57, 0                                           // 0000000020F0: BEB90080
	s_cmp_lt_u32 s56, s44                                      // 0000000020F4: BF0A2C38
	s_cselect_b32 s57, s57, 1                                  // 0000000020F8: 85398139
	s_add_u32 s71, s57, s71                                    // 0000000020FC: 80474739
	s_cmpk_eq_u32 s57, 0x1                                     // 000000002100: B4390001
	s_cselect_b32 s49, 0, s56                                  // 000000002104: 85313880
	s_mov_b32 s48, s49                                         // 000000002108: BEB00031
	v_lshrrev_b32_e32 v32, 3, v0                               // 00000000210C: 20400083
	v_and_b32_e32 v33, 1, v32                                  // 000000002110: 26424081
	v_lshlrev_b32_e32 v26, 5, v33                              // 000000002114: 24344285
	v_lshrrev_b32_e32 v32, 1, v32                              // 000000002118: 20404081
	v_lshlrev_b32_e32 v32, 3, v32                              // 00000000211C: 24404083
	v_add_u32_e32 v26, v26, v32                                // 000000002120: 6834411A
	v_and_b32_e32 v32, 7, v0                                   // 000000002124: 26400087
	v_add_u32_e32 v26, v26, v32                                // 000000002128: 6834411A
	v_add_u32_e32 v26, s45, v26                                // 00000000212C: 6834342D
	v_lshlrev_b32_e32 v26, 2, v26                              // 000000002130: 24343482
	buffer_load_dword v24, v26, s[24:27], 0 offen              // 000000002134: E0501000 8006181A
	v_add_u32_e32 v26, s73, v26                                // 00000000213C: 68343449
	buffer_load_dword v25, v26, s[24:27], 0 offen              // 000000002140: E0501000 8006191A
	v_add_u32_e32 v26, s73, v26                                // 000000002148: 68343449
	s_mul_i32 s56, s3, s66                                     // 00000000214C: 92384203
	s_add_u32 s16, s56, s16                                    // 000000002150: 80101038
	s_addc_u32 s17, 0, s17                                     // 000000002154: 82111180
	s_mul_i32 s56, s7, 0x1420                                  // 000000002158: 9238FF07 00001420
	s_add_u32 m0, 0, s56                                       // 000000002160: 807C3880
	s_mul_i32 s56, s7, 0x240                                   // 000000002164: 9238FF07 00000240
	v_lshlrev_b32_e32 v32, 2, v0                               // 00000000216C: 24400082
	v_add_u32_e64 v32, v32, s56                                // 000000002170: D1340020 00007120
	s_mul_i32 s56, 0x240, s76                                  // 000000002178: 92384CFF 00000240
	s_mul_i32 s56, s2, s56                                     // 000000002180: 92383802
	v_add_u32_e64 v32, v32, s56                                // 000000002184: D1340020 00007120
	buffer_load_dword v32, s[16:19], 0 offen lds               // 00000000218C: E0511000 80040020
	buffer_load_dword v32, s[16:19], 0 offen offset:256 lds    // 000000002194: E0511100 80040020
	buffer_load_dword v32, s[16:19], 0 offen offset:512 lds    // 00000000219C: E0511200 80040020
	buffer_load_dword v32, s[16:19], 0 offen offset:768 lds    // 0000000021A4: E0511300 80040020
	buffer_load_dword v32, s[16:19], 0 offen offset:1024 lds   // 0000000021AC: E0511400 80040020
	s_add_u32 m0, m0, 0x500                                    // 0000000021B4: 807CFF7C 00000500
	v_add_u32_e32 v32, 0x900, v32                              // 0000000021BC: 684040FF 00000900
	buffer_load_dword v32, s[16:19], 0 offen lds               // 0000000021C4: E0511000 80040020
	buffer_load_dword v32, s[16:19], 0 offen offset:256 lds    // 0000000021CC: E0511100 80040020
	buffer_load_dword v32, s[16:19], 0 offen offset:512 lds    // 0000000021D4: E0511200 80040020
	buffer_load_dword v32, s[16:19], 0 offen offset:768 lds    // 0000000021DC: E0511300 80040020
	buffer_load_dword v32, s[16:19], 0 offen offset:1024 lds   // 0000000021E4: E0511400 80040020
	s_add_u32 m0, m0, 0x500                                    // 0000000021EC: 807CFF7C 00000500
	v_add_u32_e32 v32, 0x900, v32                              // 0000000021F4: 684040FF 00000900
	v_mov_b32_e32 v10, s68                                     // 0000000021FC: 7E140244
	s_mov_b32 s52, 0x7060302                                   // 000000002200: BEB400FF 07060302
	s_mov_b32 s53, 0x5040100                                   // 000000002208: BEB500FF 05040100
	s_mul_i32 s51, s7, 4                                       // 000000002210: 92338407
	s_mov_b32 s6, 0x3fb8aa3b                                   // 000000002214: BE8600FF 3FB8AA3B
	v_mov_b32_e32 v33, s6                                      // 00000000221C: 7E420206
	v_mov_b32_e32 v32, s64                                     // 000000002220: 7E400240
	v_mul_f32_e32 v32, s6, v32                                 // 000000002224: 0A404006
	v_rcp_f32_e32 v33, v33                                     // 000000002228: 7E424521
	v_mov_b32_e32 v12, 0xff800000                              // 00000000222C: 7E1802FF FF800000
	v_mov_b32_e32 v11, 0xff800000                              // 000000002234: 7E1602FF FF800000
	v_mov_b32_e32 v18, 0                                       // 00000000223C: 7E240280
	v_mov_b32_e32 v14, 0                                       // 000000002240: 7E1C0280
	v_mov_b32_e32 v29, 0xffff0000                              // 000000002244: 7E3A02FF FFFF0000
	v_mov_b32_e32 v30, 0x7fff0000                              // 00000000224C: 7E3C02FF 7FFF0000
	v_mov_b32_e32 v31, 0x7fff                                  // 000000002254: 7E3E02FF 00007FFF
	v_readfirstlane_b32 s5, v32                                // 00000000225C: 7E0A0520
	v_readfirstlane_b32 s63, v33                               // 000000002260: 7E7E0521
	v_mov_b32_e32 v32, s60                                     // 000000002264: 7E40023C
	v_mul_f32_e32 v32, s61, v32                                // 000000002268: 0A40403D
	v_mul_f32_e32 v33, s5, v32                                 // 00000000226C: 0A424005
	v_mul_f32_e32 v35, s64, v32                                // 000000002270: 0A464040
	v_readfirstlane_b32 s5, v33                                // 000000002274: 7E0A0521
	v_readfirstlane_b32 s64, v35                               // 000000002278: 7E800523
	v_and_b32_e32 v4, 15, v0                                   // 00000000227C: 2608008F
	v_lshlrev_b32_e32 v4, 2, v4                                // 000000002280: 24080882
	v_lshlrev_b32_e32 v5, 2, v0                                // 000000002284: 240A0082
	s_mul_i32 s56, 0x100, s7                                   // 000000002288: 923807FF 00000100
	v_add_u32_e32 v5, s56, v5                                  // 000000002290: 680A0A38
	v_lshrrev_b32_e32 v32, 4, v0                               // 000000002294: 20400084
	v_lshlrev_b32_e32 v32, 7, v32                              // 000000002298: 24404087
	v_and_b32_e32 v33, 15, v0                                  // 00000000229C: 2642008F
	v_lshlrev_b32_e32 v33, 2, v33                              // 0000000022A0: 24424282
	v_add_u32_e32 v6, v32, v33                                 // 0000000022A4: 680C4320
	v_lshlrev_b32_e32 v32, 2, v0                               // 0000000022A8: 24400082
	s_mul_i32 s56, 0x100, s7                                   // 0000000022AC: 923807FF 00000100
	v_add_u32_e64 v7, v32, s56                                 // 0000000022B4: D1340007 00007120
	v_and_b32_e32 v32, 15, v0                                  // 0000000022BC: 2640008F
	v_lshlrev_b32_e32 v2, 3, v32                               // 0000000022C0: 24044083
	v_lshlrev_b32_e32 v3, 2, v32                               // 0000000022C4: 24064082
	s_mul_i32 s56, s7, 0x80                                    // 0000000022C8: 9238FF07 00000080
	v_add_u32_e32 v2, s56, v2                                  // 0000000022D0: 68040438
	s_mul_i32 s56, 4, 0x80                                     // 0000000022D4: 9238FF84 00000080
	v_add_u32_e32 v3, s56, v3                                  // 0000000022DC: 68060638
	s_waitcnt vmcnt(10)                                        // 0000000022E0: BF8C0F7A
	v_mul_u32_u24_dpp v40, v24, v10 row_newbcast:0 row_mask:0xf bank_mask:0xf// 0000000022E4: 105014FA FF015018
	v_mul_u32_u24_dpp v41, v24, v10 row_newbcast:1 row_mask:0xf bank_mask:0xf// 0000000022EC: 105214FA FF015118
	v_mul_u32_u24_dpp v42, v24, v10 row_newbcast:2 row_mask:0xf bank_mask:0xf// 0000000022F4: 105414FA FF015218
	v_mul_u32_u24_dpp v43, v24, v10 row_newbcast:3 row_mask:0xf bank_mask:0xf// 0000000022FC: 105614FA FF015318
	v_mul_u32_u24_dpp v44, v24, v10 row_newbcast:4 row_mask:0xf bank_mask:0xf// 000000002304: 105814FA FF015418
	v_mul_u32_u24_dpp v45, v24, v10 row_newbcast:5 row_mask:0xf bank_mask:0xf// 00000000230C: 105A14FA FF015518
	v_mul_u32_u24_dpp v46, v24, v10 row_newbcast:6 row_mask:0xf bank_mask:0xf// 000000002314: 105C14FA FF015618
	v_mul_u32_u24_dpp v47, v24, v10 row_newbcast:7 row_mask:0xf bank_mask:0xf// 00000000231C: 105E14FA FF015718
	v_mul_u32_u24_dpp v48, v24, v10 row_newbcast:8 row_mask:0xf bank_mask:0xf// 000000002324: 106014FA FF015818
	v_mul_u32_u24_dpp v49, v24, v10 row_newbcast:9 row_mask:0xf bank_mask:0xf// 00000000232C: 106214FA FF015918
	v_mul_u32_u24_dpp v50, v24, v10 row_newbcast:10 row_mask:0xf bank_mask:0xf// 000000002334: 106414FA FF015A18
	v_mul_u32_u24_dpp v51, v24, v10 row_newbcast:11 row_mask:0xf bank_mask:0xf// 00000000233C: 106614FA FF015B18
	v_mul_u32_u24_dpp v52, v24, v10 row_newbcast:12 row_mask:0xf bank_mask:0xf// 000000002344: 106814FA FF015C18
	v_mul_u32_u24_dpp v53, v24, v10 row_newbcast:13 row_mask:0xf bank_mask:0xf// 00000000234C: 106A14FA FF015D18
	v_mul_u32_u24_dpp v54, v24, v10 row_newbcast:14 row_mask:0xf bank_mask:0xf// 000000002354: 106C14FA FF015E18
	v_mul_u32_u24_dpp v55, v24, v10 row_newbcast:15 row_mask:0xf bank_mask:0xf// 00000000235C: 106E14FA FF015F18
	s_mov_b32 s56, m0                                          // 000000002364: BEB8007C
	s_set_gpr_idx_on s51, gpr_idx(SRC0)                        // 000000002368: BF110133
	v_add_u32_e32 v36, v40, v3                                 // 00000000236C: 68480728
	v_add_u32_e32 v37, v41, v3                                 // 000000002370: 684A0729
	v_add_u32_e32 v38, v42, v3                                 // 000000002374: 684C072A
	v_add_u32_e32 v39, v43, v3                                 // 000000002378: 684E072B
	s_set_gpr_idx_off                                          // 00000000237C: BF9C0000
	s_mov_b32 m0, s56                                          // 000000002380: BEFC0038
	v_add_u32_e32 v40, v40, v2                                 // 000000002384: 68500528
	v_add_u32_e32 v41, v41, v2                                 // 000000002388: 68520529
	v_add_u32_e32 v42, v42, v2                                 // 00000000238C: 6854052A
	v_add_u32_e32 v43, v43, v2                                 // 000000002390: 6856052B
	v_add_u32_e32 v44, v44, v2                                 // 000000002394: 6858052C
	v_add_u32_e32 v45, v45, v2                                 // 000000002398: 685A052D
	v_add_u32_e32 v46, v46, v2                                 // 00000000239C: 685C052E
	v_add_u32_e32 v47, v47, v2                                 // 0000000023A0: 685E052F
	v_add_u32_e32 v48, v48, v2                                 // 0000000023A4: 68600530
	v_add_u32_e32 v49, v49, v2                                 // 0000000023A8: 68620531
	v_add_u32_e32 v50, v50, v2                                 // 0000000023AC: 68640532
	v_add_u32_e32 v51, v51, v2                                 // 0000000023B0: 68660533
	v_add_u32_e32 v52, v52, v2                                 // 0000000023B4: 68680534
	v_add_u32_e32 v53, v53, v2                                 // 0000000023B8: 686A0535
	v_add_u32_e32 v54, v54, v2                                 // 0000000023BC: 686C0536
	v_add_u32_e32 v55, v55, v2                                 // 0000000023C0: 686E0537
	buffer_load_dwordx4 v[124:127], v40, s[20:23], 0 offen     // 0000000023C4: E05C1000 80057C28
	buffer_load_dwordx4 v[128:131], v41, s[20:23], 0 offen     // 0000000023CC: E05C1000 80058029
	buffer_load_dwordx4 v[132:135], v42, s[20:23], 0 offen     // 0000000023D4: E05C1000 8005842A
	buffer_load_dwordx4 v[136:139], v43, s[20:23], 0 offen     // 0000000023DC: E05C1000 8005882B
	buffer_load_dwordx4 v[140:143], v44, s[20:23], 0 offen     // 0000000023E4: E05C1000 80058C2C
	buffer_load_dwordx4 v[144:147], v45, s[20:23], 0 offen     // 0000000023EC: E05C1000 8005902D
	buffer_load_dwordx4 v[148:151], v46, s[20:23], 0 offen     // 0000000023F4: E05C1000 8005942E
	buffer_load_dwordx4 v[152:155], v47, s[20:23], 0 offen     // 0000000023FC: E05C1000 8005982F
	buffer_load_dwordx4 v[156:159], v48, s[20:23], 0 offen     // 000000002404: E05C1000 80059C30
	buffer_load_dwordx4 v[160:163], v49, s[20:23], 0 offen     // 00000000240C: E05C1000 8005A031
	buffer_load_dwordx4 v[164:167], v50, s[20:23], 0 offen     // 000000002414: E05C1000 8005A432
	buffer_load_dwordx4 v[168:171], v51, s[20:23], 0 offen     // 00000000241C: E05C1000 8005A833
	buffer_load_dwordx4 v[172:175], v52, s[20:23], 0 offen     // 000000002424: E05C1000 8005AC34
	buffer_load_dwordx4 v[176:179], v53, s[20:23], 0 offen     // 00000000242C: E05C1000 8005B035
	buffer_load_dwordx4 v[180:183], v54, s[20:23], 0 offen     // 000000002434: E05C1000 8005B436
	buffer_load_dwordx4 v[184:187], v55, s[20:23], 0 offen     // 00000000243C: E05C1000 8005B837
	buffer_load_dword v72, v36, s[20:23], 0 offen              // 000000002444: E0501000 80054824
	buffer_load_dword v73, v36, s[20:23], 0 offen offset:32    // 00000000244C: E0501020 80054924
	buffer_load_dword v74, v37, s[20:23], 0 offen              // 000000002454: E0501000 80054A25
	buffer_load_dword v75, v37, s[20:23], 0 offen offset:32    // 00000000245C: E0501020 80054B25
	buffer_load_dword v76, v38, s[20:23], 0 offen              // 000000002464: E0501000 80054C26
	buffer_load_dword v77, v38, s[20:23], 0 offen offset:32    // 00000000246C: E0501020 80054D26
	buffer_load_dword v78, v39, s[20:23], 0 offen              // 000000002474: E0501000 80054E27
	buffer_load_dword v79, v39, s[20:23], 0 offen offset:32    // 00000000247C: E0501020 80054F27
	buffer_load_dword v24, v26, s[24:27], 0 offen              // 000000002484: E0501000 8006181A
	v_add_u32_e32 v26, s73, v26                                // 00000000248C: 68343449
	v_lshrrev_b32_e32 v32, 4, v0                               // 000000002490: 20400084
	v_lshlrev_b32_e32 v33, 1, v32                              // 000000002494: 24424081
	v_and_b32_e32 v32, 15, v0                                  // 000000002498: 2640008F
	v_lshrrev_b32_e32 v34, 2, v32                              // 00000000249C: 20444082
	v_mul_i32_i24_e32 v34, 0x140, v34                          // 0000000024A0: 0C4444FF 00000140
	v_add_u32_e32 v33, v34, v33                                // 0000000024A8: 68424322
	v_and_b32_e32 v32, 3, v0                                   // 0000000024AC: 26400083
	v_mul_i32_i24_e32 v34, 0x508, v32                          // 0000000024B0: 0C4440FF 00000508
	v_add_u32_e32 v33, v34, v33                                // 0000000024B8: 68424322
	v_lshlrev_b32_e32 v1, 2, v33                               // 0000000024BC: 24024282
	s_waitcnt vmcnt(25) lgkmcnt(0)                             // 0000000024C0: BF8C4079
	s_barrier                                                  // 0000000024C4: BF8A0000
	ds_read_b64 a[0:1], v1                                     // 0000000024C8: DAEC0000 00000001
	ds_read_b64 a[2:3], v1 offset:32                           // 0000000024D0: DAEC0020 02000001
	ds_read_b64 a[4:5], v1 offset:64                           // 0000000024D8: DAEC0040 04000001
	ds_read_b64 a[6:7], v1 offset:96                           // 0000000024E0: DAEC0060 06000001
	ds_read_b64 a[8:9], v1 offset:128                          // 0000000024E8: DAEC0080 08000001
	ds_read_b64 a[10:11], v1 offset:160                        // 0000000024F0: DAEC00A0 0A000001
	ds_read_b64 a[12:13], v1 offset:192                        // 0000000024F8: DAEC00C0 0C000001
	ds_read_b64 a[14:15], v1 offset:224                        // 000000002500: DAEC00E0 0E000001
	ds_read_b64 a[16:17], v1 offset:256                        // 000000002508: DAEC0100 10000001
	ds_read_b64 a[18:19], v1 offset:288                        // 000000002510: DAEC0120 12000001
	ds_read_b64 a[20:21], v1 offset:320                        // 000000002518: DAEC0140 14000001
	ds_read_b64 a[22:23], v1 offset:352                        // 000000002520: DAEC0160 16000001
	ds_read_b64 a[24:25], v1 offset:384                        // 000000002528: DAEC0180 18000001
	ds_read_b64 a[26:27], v1 offset:416                        // 000000002530: DAEC01A0 1A000001
	ds_read_b64 a[28:29], v1 offset:448                        // 000000002538: DAEC01C0 1C000001
	ds_read_b64 a[30:31], v1 offset:480                        // 000000002540: DAEC01E0 1E000001
	ds_read_b64 a[32:33], v1 offset:512                        // 000000002548: DAEC0200 20000001
	ds_read_b64 a[34:35], v1 offset:544                        // 000000002550: DAEC0220 22000001
	v_mov_b32_e32 v92, 0                                       // 000000002558: 7EB80280
	v_mov_b32_e32 v93, 0                                       // 00000000255C: 7EBA0280
	v_mov_b32_e32 v94, 0                                       // 000000002560: 7EBC0280
	v_mov_b32_e32 v95, 0                                       // 000000002564: 7EBE0280
	v_mov_b32_e32 v96, 0                                       // 000000002568: 7EC00280
	v_mov_b32_e32 v97, 0                                       // 00000000256C: 7EC20280
	v_mov_b32_e32 v98, 0                                       // 000000002570: 7EC40280
	v_mov_b32_e32 v99, 0                                       // 000000002574: 7EC60280
	v_mov_b32_e32 v100, 0                                      // 000000002578: 7EC80280
	v_mov_b32_e32 v101, 0                                      // 00000000257C: 7ECA0280
	v_mov_b32_e32 v102, 0                                      // 000000002580: 7ECC0280
	v_mov_b32_e32 v103, 0                                      // 000000002584: 7ECE0280
	v_mov_b32_e32 v104, 0                                      // 000000002588: 7ED00280
	v_mov_b32_e32 v105, 0                                      // 00000000258C: 7ED20280
	v_mov_b32_e32 v106, 0                                      // 000000002590: 7ED40280
	v_mov_b32_e32 v107, 0                                      // 000000002594: 7ED60280
	v_mov_b32_e32 v108, 0                                      // 000000002598: 7ED80280
	v_mov_b32_e32 v109, 0                                      // 00000000259C: 7EDA0280
	v_mov_b32_e32 v110, 0                                      // 0000000025A0: 7EDC0280
	v_mov_b32_e32 v111, 0                                      // 0000000025A4: 7EDE0280
	v_mov_b32_e32 v112, 0                                      // 0000000025A8: 7EE00280
	v_mov_b32_e32 v113, 0                                      // 0000000025AC: 7EE20280
	v_mov_b32_e32 v114, 0                                      // 0000000025B0: 7EE40280
	v_mov_b32_e32 v115, 0                                      // 0000000025B4: 7EE60280
	v_mov_b32_e32 v116, 0                                      // 0000000025B8: 7EE80280
	v_mov_b32_e32 v117, 0                                      // 0000000025BC: 7EEA0280
	v_mov_b32_e32 v118, 0                                      // 0000000025C0: 7EEC0280
	v_mov_b32_e32 v119, 0                                      // 0000000025C4: 7EEE0280
	v_mov_b32_e32 v120, 0                                      // 0000000025C8: 7EF00280
	v_mov_b32_e32 v121, 0                                      // 0000000025CC: 7EF20280
	v_mov_b32_e32 v122, 0                                      // 0000000025D0: 7EF40280
	v_mov_b32_e32 v123, 0                                      // 0000000025D4: 7EF60280
	v_lshrrev_b32_e32 v32, 4, v0                               // 0000000025D8: 20400084
	v_mul_i32_i24_e32 v33, 0x100, v32                          // 0000000025DC: 0C4240FF 00000100
	v_and_b32_e32 v32, 15, v0                                  // 0000000025E4: 2640008F
	v_mul_i32_i24_e32 v34, 2, v32                              // 0000000025E8: 0C444082
	v_add_u32_e32 v20, v34, v33                                // 0000000025EC: 68284322
	s_mul_i32 s56, s7, 32                                      // 0000000025F0: 9238A007
	v_add_u32_e32 v20, s56, v20                                // 0000000025F4: 68282838
	v_lshlrev_b32_e32 v20, 2, v20                              // 0000000025F8: 24282882
	v_lshrrev_b32_e32 v32, 4, v0                               // 0000000025FC: 20400084
	v_mul_i32_i24_e32 v33, 0x110, v32                          // 000000002600: 0C4240FF 00000110
	v_and_b32_e32 v34, 15, v0                                  // 000000002608: 2644008F
	v_add_u32_e32 v21, v34, v33                                // 00000000260C: 682A4322
	s_and_b32 s56, 1, s7                                       // 000000002610: 86380781
	s_mul_i32 s56, s56, 0x88                                   // 000000002614: 9238FF38 00000088
	s_lshr_b32 s57, s7, 1                                      // 00000000261C: 8F398107
	s_mul_i32 s57, s57, 0x440                                  // 000000002620: 9239FF39 00000440
	s_add_u32 s56, s56, s57                                    // 000000002628: 80383938
	v_add_u32_e32 v21, s56, v21                                // 00000000262C: 682A2A38
	v_lshlrev_b32_e32 v21, 2, v21                              // 000000002630: 242A2A82
	v_lshrrev_b32_e32 v32, 4, v0                               // 000000002634: 20400084
	v_mul_i32_i24_e32 v33, 2, v32                              // 000000002638: 0C424082
	v_and_b32_e32 v32, 15, v0                                  // 00000000263C: 2640008F
	v_and_b32_e32 v34, 3, v32                                  // 000000002640: 26444083
	v_mul_i32_i24_e32 v34, 0x404, v34                          // 000000002644: 0C4444FF 00000404
	v_add_u32_e32 v22, v34, v33                                // 00000000264C: 682C4322
	v_lshrrev_b32_e32 v32, 2, v32                              // 000000002650: 20404082
	v_mul_i32_i24_e32 v32, 0x80, v32                           // 000000002654: 0C4040FF 00000080
	v_add_u32_e32 v22, v32, v22                                // 00000000265C: 682C2D20
	s_and_b32 s56, 1, s7                                       // 000000002660: 86380781
	s_mul_i32 s56, s56, 0x200                                  // 000000002664: 9238FF38 00000200
	v_add_u32_e32 v22, s56, v22                                // 00000000266C: 682C2C38
	v_lshlrev_b32_e32 v22, 2, v22                              // 000000002670: 242C2C82
	v_lshrrev_b32_e32 v32, 4, v0                               // 000000002674: 20400084
	v_mul_i32_i24_e32 v33, 2, v32                              // 000000002678: 0C424082
	v_and_b32_e32 v34, 15, v0                                  // 00000000267C: 2644008F
	v_mul_i32_i24_e32 v34, 34, v34                             // 000000002680: 0C4444A2
	v_add_u32_e32 v23, v34, v33                                // 000000002684: 682E4322
	s_mul_i32 s56, s7, 0x220                                   // 000000002688: 9238FF07 00000220
	v_add_u32_e32 v23, s56, v23                                // 000000002690: 682E2E38
	v_lshlrev_b32_e32 v23, 2, v23                              // 000000002694: 242E2E82
	v_mul_u32_u24_dpp v40, v25, v10 row_newbcast:0 row_mask:0xf bank_mask:0xf// 000000002698: 105014FA FF015019
	v_mul_u32_u24_dpp v41, v25, v10 row_newbcast:1 row_mask:0xf bank_mask:0xf// 0000000026A0: 105214FA FF015119
	v_mul_u32_u24_dpp v42, v25, v10 row_newbcast:2 row_mask:0xf bank_mask:0xf// 0000000026A8: 105414FA FF015219
	v_mul_u32_u24_dpp v43, v25, v10 row_newbcast:3 row_mask:0xf bank_mask:0xf// 0000000026B0: 105614FA FF015319
	v_mul_u32_u24_dpp v44, v25, v10 row_newbcast:4 row_mask:0xf bank_mask:0xf// 0000000026B8: 105814FA FF015419
	v_mul_u32_u24_dpp v45, v25, v10 row_newbcast:5 row_mask:0xf bank_mask:0xf// 0000000026C0: 105A14FA FF015519
	v_mul_u32_u24_dpp v46, v25, v10 row_newbcast:6 row_mask:0xf bank_mask:0xf// 0000000026C8: 105C14FA FF015619
	v_mul_u32_u24_dpp v47, v25, v10 row_newbcast:7 row_mask:0xf bank_mask:0xf// 0000000026D0: 105E14FA FF015719
	v_mul_u32_u24_dpp v48, v25, v10 row_newbcast:8 row_mask:0xf bank_mask:0xf// 0000000026D8: 106014FA FF015819
	v_mul_u32_u24_dpp v49, v25, v10 row_newbcast:9 row_mask:0xf bank_mask:0xf// 0000000026E0: 106214FA FF015919
	v_mul_u32_u24_dpp v50, v25, v10 row_newbcast:10 row_mask:0xf bank_mask:0xf// 0000000026E8: 106414FA FF015A19
	v_mul_u32_u24_dpp v51, v25, v10 row_newbcast:11 row_mask:0xf bank_mask:0xf// 0000000026F0: 106614FA FF015B19
	v_mul_u32_u24_dpp v52, v25, v10 row_newbcast:12 row_mask:0xf bank_mask:0xf// 0000000026F8: 106814FA FF015C19
	v_mul_u32_u24_dpp v53, v25, v10 row_newbcast:13 row_mask:0xf bank_mask:0xf// 000000002700: 106A14FA FF015D19
	v_mul_u32_u24_dpp v54, v25, v10 row_newbcast:14 row_mask:0xf bank_mask:0xf// 000000002708: 106C14FA FF015E19
	v_mul_u32_u24_dpp v55, v25, v10 row_newbcast:15 row_mask:0xf bank_mask:0xf// 000000002710: 106E14FA FF015F19
	s_mov_b32 s56, m0                                          // 000000002718: BEB8007C
	s_set_gpr_idx_on s51, gpr_idx(SRC0)                        // 00000000271C: BF110133
	v_add_u32_e32 v36, v40, v3                                 // 000000002720: 68480728
	v_add_u32_e32 v37, v41, v3                                 // 000000002724: 684A0729
	v_add_u32_e32 v38, v42, v3                                 // 000000002728: 684C072A
	v_add_u32_e32 v39, v43, v3                                 // 00000000272C: 684E072B
	s_set_gpr_idx_off                                          // 000000002730: BF9C0000
	s_mov_b32 m0, s56                                          // 000000002734: BEFC0038
	v_add_u32_e32 v40, v40, v2                                 // 000000002738: 68500528
	v_add_u32_e32 v41, v41, v2                                 // 00000000273C: 68520529
	v_add_u32_e32 v42, v42, v2                                 // 000000002740: 6854052A
	v_add_u32_e32 v43, v43, v2                                 // 000000002744: 6856052B
	v_add_u32_e32 v44, v44, v2                                 // 000000002748: 6858052C
	v_add_u32_e32 v45, v45, v2                                 // 00000000274C: 685A052D
	v_add_u32_e32 v46, v46, v2                                 // 000000002750: 685C052E
	v_add_u32_e32 v47, v47, v2                                 // 000000002754: 685E052F
	v_add_u32_e32 v48, v48, v2                                 // 000000002758: 68600530
	v_add_u32_e32 v49, v49, v2                                 // 00000000275C: 68620531
	v_add_u32_e32 v50, v50, v2                                 // 000000002760: 68640532
	v_add_u32_e32 v51, v51, v2                                 // 000000002764: 68660533
	;; [unrolled: 1-line block ×3, first 2 shown]
	v_add_u32_e32 v53, v53, v2                                 // 00000000276C: 686A0535
	v_add_u32_e32 v54, v54, v2                                 // 000000002770: 686C0536
	v_add_u32_e32 v55, v55, v2                                 // 000000002774: 686E0537
	buffer_load_dword v25, v26, s[24:27], 0 offen              // 000000002778: E0501000 8006191A
	v_add_u32_e32 v26, s73, v26                                // 000000002780: 68343449
	buffer_load_dwordx4 v[188:191], v40, s[20:23], 0 offen     // 000000002784: E05C1000 8005BC28
	buffer_load_dwordx4 v[192:195], v41, s[20:23], 0 offen     // 00000000278C: E05C1000 8005C029
	buffer_load_dwordx4 v[196:199], v42, s[20:23], 0 offen     // 000000002794: E05C1000 8005C42A
	buffer_load_dwordx4 v[200:203], v43, s[20:23], 0 offen     // 00000000279C: E05C1000 8005C82B
	buffer_load_dwordx4 v[204:207], v44, s[20:23], 0 offen     // 0000000027A4: E05C1000 8005CC2C
	buffer_load_dwordx4 v[208:211], v45, s[20:23], 0 offen     // 0000000027AC: E05C1000 8005D02D
	buffer_load_dwordx4 v[212:215], v46, s[20:23], 0 offen     // 0000000027B4: E05C1000 8005D42E
	buffer_load_dwordx4 v[216:219], v47, s[20:23], 0 offen     // 0000000027BC: E05C1000 8005D82F
	buffer_load_dword v80, v36, s[20:23], 0 offen              // 0000000027C4: E0501000 80055024
	buffer_load_dword v81, v36, s[20:23], 0 offen offset:32    // 0000000027CC: E0501020 80055124
	buffer_load_dword v82, v37, s[20:23], 0 offen              // 0000000027D4: E0501000 80055225
	buffer_load_dword v83, v37, s[20:23], 0 offen offset:32    // 0000000027DC: E0501020 80055325
	buffer_load_dword v84, v38, s[20:23], 0 offen              // 0000000027E4: E0501000 80055426
	buffer_load_dword v85, v38, s[20:23], 0 offen offset:32    // 0000000027EC: E0501020 80055526
	buffer_load_dword v86, v39, s[20:23], 0 offen              // 0000000027F4: E0501000 80055627
	buffer_load_dword v87, v39, s[20:23], 0 offen offset:32    // 0000000027FC: E0501020 80055727
	buffer_load_dwordx4 v[220:223], v48, s[20:23], 0 offen     // 000000002804: E05C1000 8005DC30
	buffer_load_dwordx4 v[224:227], v49, s[20:23], 0 offen     // 00000000280C: E05C1000 8005E031
	buffer_load_dwordx4 v[228:231], v50, s[20:23], 0 offen     // 000000002814: E05C1000 8005E432
	buffer_load_dwordx4 v[232:235], v51, s[20:23], 0 offen     // 00000000281C: E05C1000 8005E833
	buffer_load_dwordx4 v[236:239], v52, s[20:23], 0 offen     // 000000002824: E05C1000 8005EC34
	buffer_load_dwordx4 v[240:243], v53, s[20:23], 0 offen     // 00000000282C: E05C1000 8005F035
	buffer_load_dwordx4 v[244:247], v54, s[20:23], 0 offen     // 000000002834: E05C1000 8005F436
	buffer_load_dwordx4 v[248:251], v55, s[20:23], 0 offen     // 00000000283C: E05C1000 8005F837
	s_waitcnt vmcnt(25) lgkmcnt(0)                             // 000000002844: BF8C4079
	s_barrier                                                  // 000000002848: BF8A0000
	v_mul_u32_u24_dpp v40, v24, v10 row_newbcast:0 row_mask:0xf bank_mask:0xf// 00000000284C: 105014FA FF015018
	v_mul_u32_u24_dpp v41, v24, v10 row_newbcast:1 row_mask:0xf bank_mask:0xf// 000000002854: 105214FA FF015118
	v_mul_u32_u24_dpp v42, v24, v10 row_newbcast:2 row_mask:0xf bank_mask:0xf// 00000000285C: 105414FA FF015218
	v_mul_u32_u24_dpp v43, v24, v10 row_newbcast:3 row_mask:0xf bank_mask:0xf// 000000002864: 105614FA FF015318
	v_mul_u32_u24_dpp v44, v24, v10 row_newbcast:4 row_mask:0xf bank_mask:0xf// 00000000286C: 105814FA FF015418
	v_mul_u32_u24_dpp v45, v24, v10 row_newbcast:5 row_mask:0xf bank_mask:0xf// 000000002874: 105A14FA FF015518
	v_mul_u32_u24_dpp v46, v24, v10 row_newbcast:6 row_mask:0xf bank_mask:0xf// 00000000287C: 105C14FA FF015618
	v_mul_u32_u24_dpp v47, v24, v10 row_newbcast:7 row_mask:0xf bank_mask:0xf// 000000002884: 105E14FA FF015718
	v_mul_u32_u24_dpp v48, v24, v10 row_newbcast:8 row_mask:0xf bank_mask:0xf// 00000000288C: 106014FA FF015818
	v_mul_u32_u24_dpp v49, v24, v10 row_newbcast:9 row_mask:0xf bank_mask:0xf// 000000002894: 106214FA FF015918
	v_mul_u32_u24_dpp v50, v24, v10 row_newbcast:10 row_mask:0xf bank_mask:0xf// 00000000289C: 106414FA FF015A18
	v_mul_u32_u24_dpp v51, v24, v10 row_newbcast:11 row_mask:0xf bank_mask:0xf// 0000000028A4: 106614FA FF015B18
	v_mul_u32_u24_dpp v52, v24, v10 row_newbcast:12 row_mask:0xf bank_mask:0xf// 0000000028AC: 106814FA FF015C18
	v_mul_u32_u24_dpp v53, v24, v10 row_newbcast:13 row_mask:0xf bank_mask:0xf// 0000000028B4: 106A14FA FF015D18
	v_mul_u32_u24_dpp v54, v24, v10 row_newbcast:14 row_mask:0xf bank_mask:0xf// 0000000028BC: 106C14FA FF015E18
	v_mul_u32_u24_dpp v55, v24, v10 row_newbcast:15 row_mask:0xf bank_mask:0xf// 0000000028C4: 106E14FA FF015F18
	s_mov_b32 s56, m0                                          // 0000000028CC: BEB8007C
	s_set_gpr_idx_on s51, gpr_idx(SRC0)                        // 0000000028D0: BF110133
	v_add_u32_e32 v36, v40, v3                                 // 0000000028D4: 68480728
	v_add_u32_e32 v37, v41, v3                                 // 0000000028D8: 684A0729
	v_add_u32_e32 v38, v42, v3                                 // 0000000028DC: 684C072A
	v_add_u32_e32 v39, v43, v3                                 // 0000000028E0: 684E072B
	s_set_gpr_idx_off                                          // 0000000028E4: BF9C0000
	s_mov_b32 m0, s56                                          // 0000000028E8: BEFC0038
	v_add_u32_e32 v40, v40, v2                                 // 0000000028EC: 68500528
	v_add_u32_e32 v41, v41, v2                                 // 0000000028F0: 68520529
	v_add_u32_e32 v42, v42, v2                                 // 0000000028F4: 6854052A
	v_add_u32_e32 v43, v43, v2                                 // 0000000028F8: 6856052B
	v_add_u32_e32 v44, v44, v2                                 // 0000000028FC: 6858052C
	v_add_u32_e32 v45, v45, v2                                 // 000000002900: 685A052D
	v_add_u32_e32 v46, v46, v2                                 // 000000002904: 685C052E
	v_add_u32_e32 v47, v47, v2                                 // 000000002908: 685E052F
	v_add_u32_e32 v48, v48, v2                                 // 00000000290C: 68600530
	v_add_u32_e32 v49, v49, v2                                 // 000000002910: 68620531
	v_add_u32_e32 v50, v50, v2                                 // 000000002914: 68640532
	;; [unrolled: 1-line block ×3, first 2 shown]
	v_add_u32_e32 v52, v52, v2                                 // 00000000291C: 68680534
	v_add_u32_e32 v53, v53, v2                                 // 000000002920: 686A0535
	v_add_u32_e32 v54, v54, v2                                 // 000000002924: 686C0536
	v_add_u32_e32 v55, v55, v2                                 // 000000002928: 686E0537
	ds_write_b64 v20, v[124:125]                               // 00000000292C: D89A0000 00007C14
	ds_write_b64 v20, v[128:129] offset:4112                   // 000000002934: D89A1010 00008014
	ds_write_b64 v20, v[132:133] offset:8224                   // 00000000293C: D89A2020 00008414
	ds_write_b64 v20, v[136:137] offset:12336                  // 000000002944: D89A3030 00008814
	ds_write_b64 v20, v[140:141] offset:512                    // 00000000294C: D89A0200 00008C14
	ds_write_b64 v20, v[144:145] offset:4624                   // 000000002954: D89A1210 00009014
	ds_write_b64 v20, v[148:149] offset:8736                   // 00000000295C: D89A2220 00009414
	ds_write_b64 v20, v[152:153] offset:12848                  // 000000002964: D89A3230 00009814
	ds_write_b32 v21, v72 offset:32896                         // 00000000296C: D81A8080 00004815
	ds_write_b32 v21, v73 offset:32960                         // 000000002974: D81A80C0 00004915
	ds_write_b32 v21, v74 offset:33032                         // 00000000297C: D81A8108 00004A15
	ds_write_b32 v21, v75 offset:33096                         // 000000002984: D81A8148 00004B15
	ds_write_b32 v21, v76 offset:33168                         // 00000000298C: D81A8190 00004C15
	ds_write_b32 v21, v77 offset:33232                         // 000000002994: D81A81D0 00004D15
	ds_write_b32 v21, v78 offset:33304                         // 00000000299C: D81A8218 00004E15
	ds_write_b32 v21, v79 offset:33368                         // 0000000029A4: D81A8258 00004F15
	s_waitcnt lgkmcnt(0)                                       // 0000000029AC: BF8CC07F
	s_barrier                                                  // 0000000029B0: BF8A0000
	s_cmp_lt_i32 s7, 2                                         // 0000000029B4: BF048207
	s_cbranch_scc0 label_K_read_skip_0                         // 0000000029B8: BF840020
	ds_read_b64 a[72:73], v22                                  // 0000000029BC: DAEC0000 48000016
	ds_read_b64 a[74:75], v22 offset:32                        // 0000000029C4: DAEC0020 4A000016
	ds_read_b64 a[76:77], v22 offset:64                        // 0000000029CC: DAEC0040 4C000016
	ds_read_b64 a[78:79], v22 offset:96                        // 0000000029D4: DAEC0060 4E000016
	ds_read_b64 a[80:81], v22 offset:128                       // 0000000029DC: DAEC0080 50000016
	ds_read_b64 a[82:83], v22 offset:160                       // 0000000029E4: DAEC00A0 52000016
	ds_read_b64 a[84:85], v22 offset:192                       // 0000000029EC: DAEC00C0 54000016
	ds_read_b64 a[86:87], v22 offset:224                       // 0000000029F4: DAEC00E0 56000016
	ds_read_b64 a[88:89], v22 offset:256                       // 0000000029FC: DAEC0100 58000016
	ds_read_b64 a[90:91], v22 offset:288                       // 000000002A04: DAEC0120 5A000016
	ds_read_b64 a[92:93], v22 offset:320                       // 000000002A0C: DAEC0140 5C000016
	ds_read_b64 a[94:95], v22 offset:352                       // 000000002A14: DAEC0160 5E000016
	ds_read_b64 a[96:97], v22 offset:384                       // 000000002A1C: DAEC0180 60000016
	ds_read_b64 a[98:99], v22 offset:416                       // 000000002A24: DAEC01A0 62000016
	ds_read_b64 a[100:101], v22 offset:448                     // 000000002A2C: DAEC01C0 64000016
	ds_read_b64 a[102:103], v22 offset:480                     // 000000002A34: DAEC01E0 66000016

0000000000002a3c <label_K_read_skip_0>:
	s_waitcnt lgkmcnt(0)                                       // 000000002A3C: BF8CC07F
	s_barrier                                                  // 000000002A40: BF8A0000
	ds_write_b64 v20, v[156:157]                               // 000000002A44: D89A0000 00009C14
	ds_write_b64 v20, v[160:161] offset:4112                   // 000000002A4C: D89A1010 0000A014
	ds_write_b64 v20, v[164:165] offset:8224                   // 000000002A54: D89A2020 0000A414
	ds_write_b64 v20, v[168:169] offset:12336                  // 000000002A5C: D89A3030 0000A814
	ds_write_b64 v20, v[172:173] offset:512                    // 000000002A64: D89A0200 0000AC14
	ds_write_b64 v20, v[176:177] offset:4624                   // 000000002A6C: D89A1210 0000B014
	ds_write_b64 v20, v[180:181] offset:8736                   // 000000002A74: D89A2220 0000B414
	ds_write_b64 v20, v[184:185] offset:12848                  // 000000002A7C: D89A3230 0000B814
	s_waitcnt lgkmcnt(0)                                       // 000000002A84: BF8CC07F
	s_barrier                                                  // 000000002A88: BF8A0000
	ds_read_b64 a[104:105], v23 offset:32896                   // 000000002A8C: DAEC8080 68000017
	ds_read_b64 a[106:107], v23 offset:32928                   // 000000002A94: DAEC80A0 6A000017
	ds_read_b64 a[108:109], v23 offset:32960                   // 000000002A9C: DAEC80C0 6C000017
	ds_read_b64 a[110:111], v23 offset:32992                   // 000000002AA4: DAEC80E0 6E000017
	s_cmp_lt_i32 s7, 2                                         // 000000002AAC: BF048207
	s_cbranch_scc1 label_K_read_skip_1                         // 000000002AB0: BF850020
	ds_read_b64 a[72:73], v22                                  // 000000002AB4: DAEC0000 48000016
	ds_read_b64 a[74:75], v22 offset:32                        // 000000002ABC: DAEC0020 4A000016
	ds_read_b64 a[76:77], v22 offset:64                        // 000000002AC4: DAEC0040 4C000016
	ds_read_b64 a[78:79], v22 offset:96                        // 000000002ACC: DAEC0060 4E000016
	ds_read_b64 a[80:81], v22 offset:128                       // 000000002AD4: DAEC0080 50000016
	ds_read_b64 a[82:83], v22 offset:160                       // 000000002ADC: DAEC00A0 52000016
	ds_read_b64 a[84:85], v22 offset:192                       // 000000002AE4: DAEC00C0 54000016
	ds_read_b64 a[86:87], v22 offset:224                       // 000000002AEC: DAEC00E0 56000016
	ds_read_b64 a[88:89], v22 offset:256                       // 000000002AF4: DAEC0100 58000016
	ds_read_b64 a[90:91], v22 offset:288                       // 000000002AFC: DAEC0120 5A000016
	ds_read_b64 a[92:93], v22 offset:320                       // 000000002B04: DAEC0140 5C000016
	ds_read_b64 a[94:95], v22 offset:352                       // 000000002B0C: DAEC0160 5E000016
	ds_read_b64 a[96:97], v22 offset:384                       // 000000002B14: DAEC0180 60000016
	ds_read_b64 a[98:99], v22 offset:416                       // 000000002B1C: DAEC01A0 62000016
	ds_read_b64 a[100:101], v22 offset:448                     // 000000002B24: DAEC01C0 64000016
	ds_read_b64 a[102:103], v22 offset:480                     // 000000002B2C: DAEC01E0 66000016

0000000000002b34 <label_K_read_skip_1>:
	s_waitcnt lgkmcnt(0)                                       // 000000002B34: BF8CC07F
	s_barrier                                                  // 000000002B38: BF8A0000
	s_mov_b32 s52, 0xc0c0400                                   // 000000002B3C: BEB400FF 0C0C0400
	s_mov_b32 s53, 0x4000c0c                                   // 000000002B44: BEB500FF 04000C0C
	v_perm_b32 v56, v128, v124, s52                            // 000000002B4C: D1ED0038 00D2F980
	v_perm_b32 v57, v136, v132, s53                            // 000000002B54: D1ED0039 00D70988
	v_or_b32_e32 v58, v57, v56                                 // 000000002B5C: 28747139
	v_accvgpr_write_b32 a144, v58                              // 000000002B60: D3D94090 1800013A
	v_perm_b32 v56, v144, v140, s52                            // 000000002B68: D1ED0038 00D31990
	v_perm_b32 v57, v152, v148, s53                            // 000000002B70: D1ED0039 00D72998
	v_or_b32_e32 v58, v57, v56                                 // 000000002B78: 28747139
	v_accvgpr_write_b32 a145, v58                              // 000000002B7C: D3D94091 1800013A
	v_perm_b32 v56, v160, v156, s52                            // 000000002B84: D1ED0038 00D339A0
	v_perm_b32 v57, v168, v164, s53                            // 000000002B8C: D1ED0039 00D749A8
	v_or_b32_e32 v58, v57, v56                                 // 000000002B94: 28747139
	v_accvgpr_write_b32 a146, v58                              // 000000002B98: D3D94092 1800013A
	v_perm_b32 v56, v176, v172, s52                            // 000000002BA0: D1ED0038 00D359B0
	v_perm_b32 v57, v184, v180, s53                            // 000000002BA8: D1ED0039 00D769B8
	v_or_b32_e32 v58, v57, v56                                 // 000000002BB0: 28747139
	v_accvgpr_write_b32 a147, v58                              // 000000002BB4: D3D94093 1800013A
	s_mov_b32 s52, 0xc0c0501                                   // 000000002BBC: BEB400FF 0C0C0501
	s_mov_b32 s53, 0x5010c0c                                   // 000000002BC4: BEB500FF 05010C0C
	v_perm_b32 v56, v128, v124, s52                            // 000000002BCC: D1ED0038 00D2F980
	v_perm_b32 v57, v136, v132, s53                            // 000000002BD4: D1ED0039 00D70988
	v_or_b32_e32 v58, v57, v56                                 // 000000002BDC: 28747139
	v_accvgpr_write_b32 a152, v58                              // 000000002BE0: D3D94098 1800013A
	v_perm_b32 v56, v144, v140, s52                            // 000000002BE8: D1ED0038 00D31990
	v_perm_b32 v57, v152, v148, s53                            // 000000002BF0: D1ED0039 00D72998
	v_or_b32_e32 v58, v57, v56                                 // 000000002BF8: 28747139
	v_accvgpr_write_b32 a153, v58                              // 000000002BFC: D3D94099 1800013A
	v_perm_b32 v56, v160, v156, s52                            // 000000002C04: D1ED0038 00D339A0
	v_perm_b32 v57, v168, v164, s53                            // 000000002C0C: D1ED0039 00D749A8
	v_or_b32_e32 v58, v57, v56                                 // 000000002C14: 28747139
	v_accvgpr_write_b32 a154, v58                              // 000000002C18: D3D9409A 1800013A
	v_perm_b32 v56, v176, v172, s52                            // 000000002C20: D1ED0038 00D359B0
	v_perm_b32 v57, v184, v180, s53                            // 000000002C28: D1ED0039 00D769B8
	v_or_b32_e32 v58, v57, v56                                 // 000000002C30: 28747139
	v_accvgpr_write_b32 a155, v58                              // 000000002C34: D3D9409B 1800013A
	s_mov_b32 s52, 0xc0c0602                                   // 000000002C3C: BEB400FF 0C0C0602
	s_mov_b32 s53, 0x6020c0c                                   // 000000002C44: BEB500FF 06020C0C
	v_perm_b32 v56, v128, v124, s52                            // 000000002C4C: D1ED0038 00D2F980
	v_perm_b32 v57, v136, v132, s53                            // 000000002C54: D1ED0039 00D70988
	v_or_b32_e32 v58, v57, v56                                 // 000000002C5C: 28747139
	v_accvgpr_write_b32 a160, v58                              // 000000002C60: D3D940A0 1800013A
	v_perm_b32 v56, v144, v140, s52                            // 000000002C68: D1ED0038 00D31990
	v_perm_b32 v57, v152, v148, s53                            // 000000002C70: D1ED0039 00D72998
	v_or_b32_e32 v58, v57, v56                                 // 000000002C78: 28747139
	v_accvgpr_write_b32 a161, v58                              // 000000002C7C: D3D940A1 1800013A
	v_perm_b32 v56, v160, v156, s52                            // 000000002C84: D1ED0038 00D339A0
	v_perm_b32 v57, v168, v164, s53                            // 000000002C8C: D1ED0039 00D749A8
	v_or_b32_e32 v58, v57, v56                                 // 000000002C94: 28747139
	v_accvgpr_write_b32 a162, v58                              // 000000002C98: D3D940A2 1800013A
	v_perm_b32 v56, v176, v172, s52                            // 000000002CA0: D1ED0038 00D359B0
	v_perm_b32 v57, v184, v180, s53                            // 000000002CA8: D1ED0039 00D769B8
	v_or_b32_e32 v58, v57, v56                                 // 000000002CB0: 28747139
	v_accvgpr_write_b32 a163, v58                              // 000000002CB4: D3D940A3 1800013A
	s_mov_b32 s52, 0xc0c0703                                   // 000000002CBC: BEB400FF 0C0C0703
	s_mov_b32 s53, 0x7030c0c                                   // 000000002CC4: BEB500FF 07030C0C
	v_perm_b32 v56, v128, v124, s52                            // 000000002CCC: D1ED0038 00D2F980
	v_perm_b32 v57, v136, v132, s53                            // 000000002CD4: D1ED0039 00D70988
	v_or_b32_e32 v58, v57, v56                                 // 000000002CDC: 28747139
	v_accvgpr_write_b32 a168, v58                              // 000000002CE0: D3D940A8 1800013A
	v_perm_b32 v56, v144, v140, s52                            // 000000002CE8: D1ED0038 00D31990
	v_perm_b32 v57, v152, v148, s53                            // 000000002CF0: D1ED0039 00D72998
	v_or_b32_e32 v58, v57, v56                                 // 000000002CF8: 28747139
	v_accvgpr_write_b32 a169, v58                              // 000000002CFC: D3D940A9 1800013A
	v_perm_b32 v56, v160, v156, s52                            // 000000002D04: D1ED0038 00D339A0
	v_perm_b32 v57, v168, v164, s53                            // 000000002D0C: D1ED0039 00D749A8
	v_or_b32_e32 v58, v57, v56                                 // 000000002D14: 28747139
	v_accvgpr_write_b32 a170, v58                              // 000000002D18: D3D940AA 1800013A
	v_perm_b32 v56, v176, v172, s52                            // 000000002D20: D1ED0038 00D359B0
	v_perm_b32 v57, v184, v180, s53                            // 000000002D28: D1ED0039 00D769B8
	v_or_b32_e32 v58, v57, v56                                 // 000000002D30: 28747139
	v_accvgpr_write_b32 a171, v58                              // 000000002D34: D3D940AB 1800013A
	s_mov_b32 s52, 0xc0c0400                                   // 000000002D3C: BEB400FF 0C0C0400
	s_mov_b32 s53, 0x4000c0c                                   // 000000002D44: BEB500FF 04000C0C
	v_perm_b32 v56, v129, v125, s52                            // 000000002D4C: D1ED0038 00D2FB81
	v_perm_b32 v57, v137, v133, s53                            // 000000002D54: D1ED0039 00D70B89
	v_or_b32_e32 v58, v57, v56                                 // 000000002D5C: 28747139
	v_accvgpr_write_b32 a176, v58                              // 000000002D60: D3D940B0 1800013A
	v_perm_b32 v56, v145, v141, s52                            // 000000002D68: D1ED0038 00D31B91
	v_perm_b32 v57, v153, v149, s53                            // 000000002D70: D1ED0039 00D72B99
	v_or_b32_e32 v58, v57, v56                                 // 000000002D78: 28747139
	v_accvgpr_write_b32 a177, v58                              // 000000002D7C: D3D940B1 1800013A
	v_perm_b32 v56, v161, v157, s52                            // 000000002D84: D1ED0038 00D33BA1
	v_perm_b32 v57, v169, v165, s53                            // 000000002D8C: D1ED0039 00D74BA9
	v_or_b32_e32 v58, v57, v56                                 // 000000002D94: 28747139
	v_accvgpr_write_b32 a178, v58                              // 000000002D98: D3D940B2 1800013A
	v_perm_b32 v56, v177, v173, s52                            // 000000002DA0: D1ED0038 00D35BB1
	v_perm_b32 v57, v185, v181, s53                            // 000000002DA8: D1ED0039 00D76BB9
	v_or_b32_e32 v58, v57, v56                                 // 000000002DB0: 28747139
	v_accvgpr_write_b32 a179, v58                              // 000000002DB4: D3D940B3 1800013A
	s_mov_b32 s52, 0xc0c0501                                   // 000000002DBC: BEB400FF 0C0C0501
	s_mov_b32 s53, 0x5010c0c                                   // 000000002DC4: BEB500FF 05010C0C
	v_perm_b32 v56, v129, v125, s52                            // 000000002DCC: D1ED0038 00D2FB81
	v_perm_b32 v57, v137, v133, s53                            // 000000002DD4: D1ED0039 00D70B89
	v_or_b32_e32 v58, v57, v56                                 // 000000002DDC: 28747139
	v_accvgpr_write_b32 a184, v58                              // 000000002DE0: D3D940B8 1800013A
	v_perm_b32 v56, v145, v141, s52                            // 000000002DE8: D1ED0038 00D31B91
	v_perm_b32 v57, v153, v149, s53                            // 000000002DF0: D1ED0039 00D72B99
	v_or_b32_e32 v58, v57, v56                                 // 000000002DF8: 28747139
	v_accvgpr_write_b32 a185, v58                              // 000000002DFC: D3D940B9 1800013A
	v_perm_b32 v56, v161, v157, s52                            // 000000002E04: D1ED0038 00D33BA1
	v_perm_b32 v57, v169, v165, s53                            // 000000002E0C: D1ED0039 00D74BA9
	v_or_b32_e32 v58, v57, v56                                 // 000000002E14: 28747139
	v_accvgpr_write_b32 a186, v58                              // 000000002E18: D3D940BA 1800013A
	v_perm_b32 v56, v177, v173, s52                            // 000000002E20: D1ED0038 00D35BB1
	v_perm_b32 v57, v185, v181, s53                            // 000000002E28: D1ED0039 00D76BB9
	v_or_b32_e32 v58, v57, v56                                 // 000000002E30: 28747139
	v_accvgpr_write_b32 a187, v58                              // 000000002E34: D3D940BB 1800013A
	s_mov_b32 s52, 0xc0c0602                                   // 000000002E3C: BEB400FF 0C0C0602
	s_mov_b32 s53, 0x6020c0c                                   // 000000002E44: BEB500FF 06020C0C
	v_perm_b32 v56, v129, v125, s52                            // 000000002E4C: D1ED0038 00D2FB81
	v_perm_b32 v57, v137, v133, s53                            // 000000002E54: D1ED0039 00D70B89
	v_or_b32_e32 v58, v57, v56                                 // 000000002E5C: 28747139
	v_accvgpr_write_b32 a192, v58                              // 000000002E60: D3D940C0 1800013A
	v_perm_b32 v56, v145, v141, s52                            // 000000002E68: D1ED0038 00D31B91
	v_perm_b32 v57, v153, v149, s53                            // 000000002E70: D1ED0039 00D72B99
	v_or_b32_e32 v58, v57, v56                                 // 000000002E78: 28747139
	v_accvgpr_write_b32 a193, v58                              // 000000002E7C: D3D940C1 1800013A
	v_perm_b32 v56, v161, v157, s52                            // 000000002E84: D1ED0038 00D33BA1
	v_perm_b32 v57, v169, v165, s53                            // 000000002E8C: D1ED0039 00D74BA9
	v_or_b32_e32 v58, v57, v56                                 // 000000002E94: 28747139
	v_accvgpr_write_b32 a194, v58                              // 000000002E98: D3D940C2 1800013A
	v_perm_b32 v56, v177, v173, s52                            // 000000002EA0: D1ED0038 00D35BB1
	v_perm_b32 v57, v185, v181, s53                            // 000000002EA8: D1ED0039 00D76BB9
	v_or_b32_e32 v58, v57, v56                                 // 000000002EB0: 28747139
	v_accvgpr_write_b32 a195, v58                              // 000000002EB4: D3D940C3 1800013A
	s_mov_b32 s52, 0xc0c0703                                   // 000000002EBC: BEB400FF 0C0C0703
	s_mov_b32 s53, 0x7030c0c                                   // 000000002EC4: BEB500FF 07030C0C
	v_perm_b32 v56, v129, v125, s52                            // 000000002ECC: D1ED0038 00D2FB81
	v_perm_b32 v57, v137, v133, s53                            // 000000002ED4: D1ED0039 00D70B89
	v_or_b32_e32 v58, v57, v56                                 // 000000002EDC: 28747139
	v_accvgpr_write_b32 a200, v58                              // 000000002EE0: D3D940C8 1800013A
	v_perm_b32 v56, v145, v141, s52                            // 000000002EE8: D1ED0038 00D31B91
	v_perm_b32 v57, v153, v149, s53                            // 000000002EF0: D1ED0039 00D72B99
	v_or_b32_e32 v58, v57, v56                                 // 000000002EF8: 28747139
	v_accvgpr_write_b32 a201, v58                              // 000000002EFC: D3D940C9 1800013A
	v_perm_b32 v56, v161, v157, s52                            // 000000002F04: D1ED0038 00D33BA1
	v_perm_b32 v57, v169, v165, s53                            // 000000002F0C: D1ED0039 00D74BA9
	v_or_b32_e32 v58, v57, v56                                 // 000000002F14: 28747139
	v_accvgpr_write_b32 a202, v58                              // 000000002F18: D3D940CA 1800013A
	v_perm_b32 v56, v177, v173, s52                            // 000000002F20: D1ED0038 00D35BB1
	v_perm_b32 v57, v185, v181, s53                            // 000000002F28: D1ED0039 00D76BB9
	v_or_b32_e32 v58, v57, v56                                 // 000000002F30: 28747139
	v_accvgpr_write_b32 a203, v58                              // 000000002F34: D3D940CB 1800013A
	s_cmp_lt_u32 s71, 1                                        // 000000002F3C: BF0A8147
	s_cbranch_scc1 label_tail_process                          // 000000002F40: BF850A75
	s_cmp_lt_i32 s7, 2                                         // 000000002F44: BF048207
	s_cbranch_scc0 label_core_loop_1                           // 000000002F48: BF84053A

0000000000002f4c <label_core_loop_0>:
	s_waitcnt vmcnt(8) lgkmcnt(0)                              // 000000002F4C: BF8C0078
	s_barrier                                                  // 000000002F50: BF8A0000
	v_mfma_f32_16x16x32_fp8_fp8 v[88:91], a[72:73], a[0:1], 0  // 000000002F54: D3F30058 1A020148
	ds_write_b64 v20, v[188:189]                               // 000000002F5C: D89A0000 0000BC14
	v_mfma_f32_16x16x32_fp8_fp8 v[88:91], a[74:75], a[2:3], v[88:91]// 000000002F64: D3F30058 1D62054A
	buffer_load_dwordx4 v[124:127], v40, s[20:23], 0 offen     // 000000002F6C: E05C1000 80057C28
	v_mfma_f32_16x16x32_fp8_fp8 v[88:91], a[76:77], a[4:5], v[88:91]// 000000002F74: D3F30058 1D62094C
	ds_write_b64 v20, v[192:193] offset:4112                   // 000000002F7C: D89A1010 0000C014
	ds_write_b32 v21, v80 offset:32896                         // 000000002F84: D81A8080 00005015
	ds_write_b32 v21, v81 offset:32960                         // 000000002F8C: D81A80C0 00005115
	v_mfma_f32_16x16x32_fp8_fp8 v[88:91], a[78:79], a[6:7], v[88:91]// 000000002F94: D3F30058 1D620D4E
	buffer_load_dword v24, v26, s[24:27], 0 offen              // 000000002F9C: E0501000 8006181A
	v_mfma_f32_16x16x32_fp8_fp8 v[88:91], a[80:81], a[8:9], v[88:91]// 000000002FA4: D3F30058 1D621150
	ds_write_b64 v20, v[196:197] offset:8224                   // 000000002FAC: D89A2020 0000C414
	ds_write_b32 v21, v82 offset:33032                         // 000000002FB4: D81A8108 00005215
	ds_write_b32 v21, v83 offset:33096                         // 000000002FBC: D81A8148 00005315
	v_mfma_f32_16x16x32_fp8_fp8 v[88:91], a[82:83], a[10:11], v[88:91]// 000000002FC4: D3F30058 1D621552
	buffer_load_dwordx4 v[128:131], v41, s[20:23], 0 offen     // 000000002FCC: E05C1000 80058029
	v_mfma_f32_16x16x32_fp8_fp8 v[88:91], a[84:85], a[12:13], v[88:91]// 000000002FD4: D3F30058 1D621954
	ds_write_b64 v20, v[200:201] offset:12336                  // 000000002FDC: D89A3030 0000C814
	ds_write_b32 v21, v84 offset:33168                         // 000000002FE4: D81A8190 00005415
	ds_write_b32 v21, v85 offset:33232                         // 000000002FEC: D81A81D0 00005515
	v_mfma_f32_16x16x32_fp8_fp8 v[88:91], a[86:87], a[14:15], v[88:91]// 000000002FF4: D3F30058 1D621D56
	v_mfma_f32_16x16x32_fp8_fp8 v[88:91], a[88:89], a[16:17], v[88:91]// 000000002FFC: D3F30058 1D622158
	ds_write_b64 v20, v[204:205] offset:512                    // 000000003004: D89A0200 0000CC14
	ds_write_b32 v21, v86 offset:33304                         // 00000000300C: D81A8218 00005615
	ds_write_b32 v21, v87 offset:33368                         // 000000003014: D81A8258 00005715
	v_mfma_f32_16x16x32_fp8_fp8 v[88:91], a[90:91], a[18:19], v[88:91]// 00000000301C: D3F30058 1D62255A
	buffer_load_dwordx4 v[132:135], v42, s[20:23], 0 offen     // 000000003024: E05C1000 8005842A
	v_mfma_f32_16x16x32_fp8_fp8 v[88:91], a[92:93], a[20:21], v[88:91]// 00000000302C: D3F30058 1D62295C
	ds_write_b64 v20, v[208:209] offset:4624                   // 000000003034: D89A1210 0000D014
	v_mfma_f32_16x16x32_fp8_fp8 v[88:91], a[94:95], a[22:23], v[88:91]// 00000000303C: D3F30058 1D622D5E
	v_mfma_f32_16x16x32_fp8_fp8 v[88:91], a[96:97], a[24:25], v[88:91]// 000000003044: D3F30058 1D623160
	ds_write_b64 v20, v[212:213] offset:8736                   // 00000000304C: D89A2220 0000D414
	v_mfma_f32_16x16x32_fp8_fp8 v[88:91], a[98:99], a[26:27], v[88:91]// 000000003054: D3F30058 1D623562
	buffer_load_dwordx4 v[136:139], v43, s[20:23], 0 offen     // 00000000305C: E05C1000 8005882B
	v_mfma_f32_16x16x32_fp8_fp8 v[88:91], a[100:101], a[28:29], v[88:91]// 000000003064: D3F30058 1D623964
	ds_write_b64 v20, v[216:217] offset:12848                  // 00000000306C: D89A3230 0000D814
	v_mfma_f32_16x16x32_fp8_fp8 v[88:91], a[102:103], a[30:31], v[88:91]// 000000003074: D3F30058 1D623D66
	buffer_load_dword v72, v36, s[20:23], 0 offen              // 00000000307C: E0501000 80054824
	buffer_load_dword v73, v36, s[20:23], 0 offen offset:32    // 000000003084: E0501020 80054924
	v_mfma_f32_16x16x32_fp8_fp8 v[88:91], a[104:105], a[32:33], v[88:91]// 00000000308C: D3F30058 1D624168
	v_mfma_f32_16x16x32_fp8_fp8 v[88:91], a[106:107], a[34:35], v[88:91]// 000000003094: D3F30058 1D62456A
	buffer_load_dwordx4 v[140:143], v44, s[20:23], 0 offen     // 00000000309C: E05C1000 80058C2C
	buffer_load_dword v74, v37, s[20:23], 0 offen              // 0000000030A4: E0501000 80054A25
	buffer_load_dword v75, v37, s[20:23], 0 offen offset:32    // 0000000030AC: E0501020 80054B25
	s_waitcnt lgkmcnt(0)                                       // 0000000030B4: BF8CC07F
	s_barrier                                                  // 0000000030B8: BF8A0000
	ds_read_b64 a[72:73], v22                                  // 0000000030BC: DAEC0000 48000016
	ds_read_b64 a[74:75], v22 offset:32                        // 0000000030C4: DAEC0020 4A000016
	ds_read_b64 a[76:77], v22 offset:64                        // 0000000030CC: DAEC0040 4C000016
	ds_read_b64 a[78:79], v22 offset:96                        // 0000000030D4: DAEC0060 4E000016
	ds_read_b64 a[80:81], v22 offset:128                       // 0000000030DC: DAEC0080 50000016
	ds_read_b64 a[82:83], v22 offset:160                       // 0000000030E4: DAEC00A0 52000016
	ds_read_b64 a[84:85], v22 offset:192                       // 0000000030EC: DAEC00C0 54000016
	ds_read_b64 a[86:87], v22 offset:224                       // 0000000030F4: DAEC00E0 56000016
	ds_read_b64 a[88:89], v22 offset:256                       // 0000000030FC: DAEC0100 58000016
	ds_read_b64 a[90:91], v22 offset:288                       // 000000003104: DAEC0120 5A000016
	ds_read_b64 a[92:93], v22 offset:320                       // 00000000310C: DAEC0140 5C000016
	ds_read_b64 a[94:95], v22 offset:352                       // 000000003114: DAEC0160 5E000016
	ds_read_b64 a[96:97], v22 offset:384                       // 00000000311C: DAEC0180 60000016
	ds_read_b64 a[98:99], v22 offset:416                       // 000000003124: DAEC01A0 62000016
	ds_read_b64 a[100:101], v22 offset:448                     // 00000000312C: DAEC01C0 64000016
	ds_read_b64 a[102:103], v22 offset:480                     // 000000003134: DAEC01E0 66000016
	ds_read_b64 a[104:105], v23 offset:32896                   // 00000000313C: DAEC8080 68000017
	ds_read_b64 a[106:107], v23 offset:32928                   // 000000003144: DAEC80A0 6A000017
	ds_read_b64 a[108:109], v23 offset:32960                   // 00000000314C: DAEC80C0 6C000017
	ds_read_b64 a[110:111], v23 offset:32992                   // 000000003154: DAEC80E0 6E000017
	s_waitcnt lgkmcnt(0)                                       // 00000000315C: BF8CC07F
	v_add_u32_e32 v26, s73, v26                                // 000000003160: 68343449
	buffer_load_dword v76, v38, s[20:23], 0 offen              // 000000003164: E0501000 80054C26
	buffer_load_dword v77, v38, s[20:23], 0 offen offset:32    // 00000000316C: E0501020 80054D26
	s_nop 8                                                    // 000000003174: BF800008
	v_mov_b32_e32 v8, v88                                      // 000000003178: 7E100358
	v_max3_f32 v8, v88, v89, v8                                // 00000000317C: D1D30008 0422B358
	v_max3_f32 v8, v90, v91, v8                                // 000000003184: D1D30008 0422B75A
	ds_write_b32 v5, v8 offset:41600                           // 00000000318C: D81AA280 00000805
	buffer_load_dword v78, v39, s[20:23], 0 offen              // 000000003194: E0501000 80054E27
	buffer_load_dword v79, v39, s[20:23], 0 offen offset:32    // 00000000319C: E0501020 80054F27
	s_waitcnt lgkmcnt(0)                                       // 0000000031A4: BF8CC07F
	s_barrier                                                  // 0000000031A8: BF8A0000
	ds_read_b32 v56, v4 offset:41600                           // 0000000031AC: D86CA280 38000004
	buffer_load_dwordx4 v[144:147], v45, s[20:23], 0 offen     // 0000000031B4: E05C1000 8005902D
	ds_read_b32 v57, v4 offset:41664                           // 0000000031BC: D86CA2C0 39000004
	ds_read_b32 v58, v4 offset:41728                           // 0000000031C4: D86CA300 3A000004
	ds_read_b32 v59, v4 offset:41792                           // 0000000031CC: D86CA340 3B000004
	ds_read_b32 v60, v4 offset:41856                           // 0000000031D4: D86CA380 3C000004
	ds_read_b32 v61, v4 offset:41920                           // 0000000031DC: D86CA3C0 3D000004
	ds_read_b32 v62, v4 offset:41984                           // 0000000031E4: D86CA400 3E000004
	ds_read_b32 v63, v4 offset:42048                           // 0000000031EC: D86CA440 3F000004
	ds_read_b32 v64, v4 offset:42112                           // 0000000031F4: D86CA480 40000004
	buffer_load_dwordx4 v[148:151], v46, s[20:23], 0 offen     // 0000000031FC: E05C1000 8005942E
	ds_read_b32 v65, v4 offset:42176                           // 000000003204: D86CA4C0 41000004
	ds_read_b32 v66, v4 offset:42240                           // 00000000320C: D86CA500 42000004
	ds_read_b32 v67, v4 offset:42304                           // 000000003214: D86CA540 43000004
	ds_read_b32 v68, v4 offset:42368                           // 00000000321C: D86CA580 44000004
	ds_read_b32 v69, v4 offset:42432                           // 000000003224: D86CA5C0 45000004
	ds_read_b32 v70, v4 offset:42496                           // 00000000322C: D86CA600 46000004
	ds_read_b32 v71, v4 offset:42560                           // 000000003234: D86CA640 47000004
	buffer_load_dwordx4 v[152:155], v47, s[20:23], 0 offen     // 00000000323C: E05C1000 8005982F
	s_waitcnt lgkmcnt(0)                                       // 000000003244: BF8CC07F
	v_max3_f32 v8, v56, v57, v8                                // 000000003248: D1D30008 04227338
	v_max3_f32 v8, v58, v59, v8                                // 000000003250: D1D30008 0422773A
	v_max3_f32 v8, v60, v61, v8                                // 000000003258: D1D30008 04227B3C
	v_max3_f32 v8, v62, v63, v8                                // 000000003260: D1D30008 04227F3E
	v_max3_f32 v8, v64, v65, v8                                // 000000003268: D1D30008 04228340
	v_max3_f32 v8, v66, v67, v8                                // 000000003270: D1D30008 04228742
	v_max3_f32 v8, v68, v69, v8                                // 000000003278: D1D30008 04228B44
	v_max3_f32 v8, v70, v71, v8                                // 000000003280: D1D30008 04228F46
	buffer_load_dwordx4 v[156:159], v48, s[20:23], 0 offen     // 000000003288: E05C1000 80059C30
	v_cmp_eq_u32_e64 s[32:33], v11, v12                        // 000000003290: D0CA0020 0002190B
	v_max_f32_e32 v13, v8, v12                                 // 000000003298: 161A1908
	v_sub_f32_e32 v18, v12, v13                                // 00000000329C: 04241B0C
	v_cndmask_b32_e64 v18, v18, 0, s[32:33]                    // 0000000032A0: D1000012 00810112
	v_mov_b32_e32 v12, v13                                     // 0000000032A8: 7E18030D
	v_mul_f32_e32 v9, s5, v13                                  // 0000000032AC: 0A121A05
	v_mul_f32_e32 v18, s5, v18                                 // 0000000032B0: 0A242405
	v_exp_f32_e32 v18, v18                                     // 0000000032B4: 7E244112
	buffer_load_dwordx4 v[160:163], v49, s[20:23], 0 offen     // 0000000032B8: E05C1000 8005A031
	v_fma_f32 v88, v88, s5, -v9                                // 0000000032C0: D1CB0058 84240B58
	v_fma_f32 v89, v89, s5, -v9                                // 0000000032C8: D1CB0059 84240B59
	v_fma_f32 v90, v90, s5, -v9                                // 0000000032D0: D1CB005A 84240B5A
	v_fma_f32 v91, v91, s5, -v9                                // 0000000032D8: D1CB005B 84240B5B
	v_exp_f32_e32 v88, v88                                     // 0000000032E0: 7EB04158
	v_exp_f32_e32 v89, v89                                     // 0000000032E4: 7EB24159
	v_exp_f32_e32 v90, v90                                     // 0000000032E8: 7EB4415A
	v_exp_f32_e32 v91, v91                                     // 0000000032EC: 7EB6415B
	buffer_load_dwordx4 v[164:167], v50, s[20:23], 0 offen     // 0000000032F0: E05C1000 8005A432
	v_mul_f32_e32 v14, v18, v14                                // 0000000032F8: 0A1C1D12
	v_mov_b32_e32 v15, v88                                     // 0000000032FC: 7E1E0358
	v_add_f32_e32 v15, v89, v15                                // 000000003300: 021E1F59
	v_add_f32_e32 v15, v90, v15                                // 000000003304: 021E1F5A
	v_add_f32_e32 v15, v91, v15                                // 000000003308: 021E1F5B
	v_add_f32_e32 v14, v15, v14                                // 00000000330C: 021C1D0F
	buffer_load_dwordx4 v[168:171], v51, s[20:23], 0 offen     // 000000003310: E05C1000 8005A833
	v_cvt_pk_fp8_f32 v88, v88, v89                             // 000000003318: D2A20058 0002B358
	s_nop 1                                                    // 000000003320: BF800001
	v_cvt_pk_fp8_f32 v88, v90, v91 op_sel:[0,0,1]              // 000000003324: D2A24058 0002B75A
	ds_write_b32 v7, v88 offset:42624                          // 00000000332C: D81AA680 00005807
	buffer_load_dwordx4 v[172:175], v52, s[20:23], 0 offen     // 000000003334: E05C1000 8005AC34
	buffer_load_dwordx4 v[176:179], v53, s[20:23], 0 offen     // 00000000333C: E05C1000 8005B035
	buffer_load_dwordx4 v[180:183], v54, s[20:23], 0 offen     // 000000003344: E05C1000 8005B436
	buffer_load_dwordx4 v[184:187], v55, s[20:23], 0 offen     // 00000000334C: E05C1000 8005B837
	s_waitcnt lgkmcnt(0)                                       // 000000003354: BF8CC07F
	s_barrier                                                  // 000000003358: BF8A0000
	ds_read_b32 v88, v6 offset:42624                           // 00000000335C: D86CA680 58000006
	ds_read_b32 v89, v6 offset:42688                           // 000000003364: D86CA6C0 59000006
	ds_read_b32 v90, v6 offset:43136                           // 00000000336C: D86CA880 5A000006
	ds_read_b32 v91, v6 offset:43200                           // 000000003374: D86CA8C0 5B000006
	v_mul_u32_u24_dpp v40, v25, v10 row_newbcast:0 row_mask:0xf bank_mask:0xf// 00000000337C: 105014FA FF015019
	v_mul_u32_u24_dpp v41, v25, v10 row_newbcast:1 row_mask:0xf bank_mask:0xf// 000000003384: 105214FA FF015119
	v_mul_u32_u24_dpp v42, v25, v10 row_newbcast:2 row_mask:0xf bank_mask:0xf// 00000000338C: 105414FA FF015219
	v_mul_u32_u24_dpp v43, v25, v10 row_newbcast:3 row_mask:0xf bank_mask:0xf// 000000003394: 105614FA FF015319
	v_mul_u32_u24_dpp v44, v25, v10 row_newbcast:4 row_mask:0xf bank_mask:0xf// 00000000339C: 105814FA FF015419
	v_mul_u32_u24_dpp v45, v25, v10 row_newbcast:5 row_mask:0xf bank_mask:0xf// 0000000033A4: 105A14FA FF015519
	v_mul_u32_u24_dpp v46, v25, v10 row_newbcast:6 row_mask:0xf bank_mask:0xf// 0000000033AC: 105C14FA FF015619
	v_mul_u32_u24_dpp v47, v25, v10 row_newbcast:7 row_mask:0xf bank_mask:0xf// 0000000033B4: 105E14FA FF015719
	v_mul_u32_u24_dpp v48, v25, v10 row_newbcast:8 row_mask:0xf bank_mask:0xf// 0000000033BC: 106014FA FF015819
	v_mul_u32_u24_dpp v49, v25, v10 row_newbcast:9 row_mask:0xf bank_mask:0xf// 0000000033C4: 106214FA FF015919
	v_mul_u32_u24_dpp v50, v25, v10 row_newbcast:10 row_mask:0xf bank_mask:0xf// 0000000033CC: 106414FA FF015A19
	v_mul_u32_u24_dpp v51, v25, v10 row_newbcast:11 row_mask:0xf bank_mask:0xf// 0000000033D4: 106614FA FF015B19
	v_mul_u32_u24_dpp v52, v25, v10 row_newbcast:12 row_mask:0xf bank_mask:0xf// 0000000033DC: 106814FA FF015C19
	v_mul_u32_u24_dpp v53, v25, v10 row_newbcast:13 row_mask:0xf bank_mask:0xf// 0000000033E4: 106A14FA FF015D19
	v_mul_u32_u24_dpp v54, v25, v10 row_newbcast:14 row_mask:0xf bank_mask:0xf// 0000000033EC: 106C14FA FF015E19
	v_mul_u32_u24_dpp v55, v25, v10 row_newbcast:15 row_mask:0xf bank_mask:0xf// 0000000033F4: 106E14FA FF015F19
	s_mov_b32 s56, m0                                          // 0000000033FC: BEB8007C
	s_set_gpr_idx_on s51, gpr_idx(SRC0)                        // 000000003400: BF110133
	v_add_u32_e32 v36, v40, v3                                 // 000000003404: 68480728
	v_add_u32_e32 v37, v41, v3                                 // 000000003408: 684A0729
	v_add_u32_e32 v38, v42, v3                                 // 00000000340C: 684C072A
	v_add_u32_e32 v39, v43, v3                                 // 000000003410: 684E072B
	s_set_gpr_idx_off                                          // 000000003414: BF9C0000
	s_mov_b32 m0, s56                                          // 000000003418: BEFC0038
	v_add_u32_e32 v40, v40, v2                                 // 00000000341C: 68500528
	v_add_u32_e32 v41, v41, v2                                 // 000000003420: 68520529
	v_add_u32_e32 v42, v42, v2                                 // 000000003424: 6854052A
	v_add_u32_e32 v43, v43, v2                                 // 000000003428: 6856052B
	v_add_u32_e32 v44, v44, v2                                 // 00000000342C: 6858052C
	v_add_u32_e32 v45, v45, v2                                 // 000000003430: 685A052D
	v_add_u32_e32 v46, v46, v2                                 // 000000003434: 685C052E
	v_add_u32_e32 v47, v47, v2                                 // 000000003438: 685E052F
	v_add_u32_e32 v48, v48, v2                                 // 00000000343C: 68600530
	v_add_u32_e32 v49, v49, v2                                 // 000000003440: 68620531
	v_add_u32_e32 v50, v50, v2                                 // 000000003444: 68640532
	;; [unrolled: 1-line block ×3, first 2 shown]
	v_add_u32_e32 v52, v52, v2                                 // 00000000344C: 68680534
	v_add_u32_e32 v53, v53, v2                                 // 000000003450: 686A0535
	v_add_u32_e32 v54, v54, v2                                 // 000000003454: 686C0536
	v_add_u32_e32 v55, v55, v2                                 // 000000003458: 686E0537
	s_waitcnt lgkmcnt(0)                                       // 00000000345C: BF8CC07F
	v_mul_f32_e32 v92, v18, v92                                // 000000003460: 0AB8B912
	v_mul_f32_e32 v93, v18, v93                                // 000000003464: 0ABABB12
	v_mul_f32_e32 v94, v18, v94                                // 000000003468: 0ABCBD12
	v_mul_f32_e32 v95, v18, v95                                // 00000000346C: 0ABEBF12
	v_mul_f32_e32 v96, v18, v96                                // 000000003470: 0AC0C112
	v_mul_f32_e32 v97, v18, v97                                // 000000003474: 0AC2C312
	v_mul_f32_e32 v98, v18, v98                                // 000000003478: 0AC4C512
	v_mul_f32_e32 v99, v18, v99                                // 00000000347C: 0AC6C712
	v_mul_f32_e32 v100, v18, v100                              // 000000003480: 0AC8C912
	v_mul_f32_e32 v101, v18, v101                              // 000000003484: 0ACACB12
	v_mul_f32_e32 v102, v18, v102                              // 000000003488: 0ACCCD12
	v_mul_f32_e32 v103, v18, v103                              // 00000000348C: 0ACECF12
	v_mul_f32_e32 v104, v18, v104                              // 000000003490: 0AD0D112
	v_mul_f32_e32 v105, v18, v105                              // 000000003494: 0AD2D312
	v_mul_f32_e32 v106, v18, v106                              // 000000003498: 0AD4D512
	v_mul_f32_e32 v107, v18, v107                              // 00000000349C: 0AD6D712
	v_mul_f32_e32 v108, v18, v108                              // 0000000034A0: 0AD8D912
	v_mul_f32_e32 v109, v18, v109                              // 0000000034A4: 0ADADB12
	v_mul_f32_e32 v110, v18, v110                              // 0000000034A8: 0ADCDD12
	v_mul_f32_e32 v111, v18, v111                              // 0000000034AC: 0ADEDF12
	v_mul_f32_e32 v112, v18, v112                              // 0000000034B0: 0AE0E112
	v_mul_f32_e32 v113, v18, v113                              // 0000000034B4: 0AE2E312
	v_mul_f32_e32 v114, v18, v114                              // 0000000034B8: 0AE4E512
	v_mul_f32_e32 v115, v18, v115                              // 0000000034BC: 0AE6E712
	v_mul_f32_e32 v116, v18, v116                              // 0000000034C0: 0AE8E912
	v_mul_f32_e32 v117, v18, v117                              // 0000000034C4: 0AEAEB12
	v_mul_f32_e32 v118, v18, v118                              // 0000000034C8: 0AECED12
	v_mul_f32_e32 v119, v18, v119                              // 0000000034CC: 0AEEEF12
	v_mul_f32_e32 v120, v18, v120                              // 0000000034D0: 0AF0F112
	v_mul_f32_e32 v121, v18, v121                              // 0000000034D4: 0AF2F312
	v_mul_f32_e32 v122, v18, v122                              // 0000000034D8: 0AF4F512
	v_mul_f32_e32 v123, v18, v123                              // 0000000034DC: 0AF6F712
	s_waitcnt vmcnt(25)                                        // 0000000034E0: BF8C4F79
	v_mfma_f32_16x16x32_fp8_fp8 v[92:95], a[144:145], v[88:89], v[92:95]// 0000000034E4: D3F3005C 0D72B190
	v_mfma_f32_16x16x32_fp8_fp8 v[92:95], a[146:147], v[90:91], v[92:95]// 0000000034EC: D3F3005C 0D72B592
	ds_write_b64 v20, v[220:221]                               // 0000000034F4: D89A0000 0000DC14
	v_mfma_f32_16x16x32_fp8_fp8 v[96:99], a[152:153], v[88:89], v[96:99]// 0000000034FC: D3F30060 0D82B198
	v_mfma_f32_16x16x32_fp8_fp8 v[96:99], a[154:155], v[90:91], v[96:99]// 000000003504: D3F30060 0D82B59A
	ds_write_b64 v20, v[224:225] offset:4112                   // 00000000350C: D89A1010 0000E014
	v_mfma_f32_16x16x32_fp8_fp8 v[100:103], a[160:161], v[88:89], v[100:103]// 000000003514: D3F30064 0D92B1A0
	v_mfma_f32_16x16x32_fp8_fp8 v[100:103], a[162:163], v[90:91], v[100:103]// 00000000351C: D3F30064 0D92B5A2
	ds_write_b64 v20, v[228:229] offset:8224                   // 000000003524: D89A2020 0000E414
	v_mfma_f32_16x16x32_fp8_fp8 v[104:107], a[168:169], v[88:89], v[104:107]// 00000000352C: D3F30068 0DA2B1A8
	v_mfma_f32_16x16x32_fp8_fp8 v[104:107], a[170:171], v[90:91], v[104:107]// 000000003534: D3F30068 0DA2B5AA
	ds_write_b64 v20, v[232:233] offset:12336                  // 00000000353C: D89A3030 0000E814
	v_mfma_f32_16x16x32_fp8_fp8 v[108:111], a[176:177], v[88:89], v[108:111]// 000000003544: D3F3006C 0DB2B1B0
	v_mfma_f32_16x16x32_fp8_fp8 v[108:111], a[178:179], v[90:91], v[108:111]// 00000000354C: D3F3006C 0DB2B5B2
	ds_write_b64 v20, v[236:237] offset:512                    // 000000003554: D89A0200 0000EC14
	v_mfma_f32_16x16x32_fp8_fp8 v[112:115], a[184:185], v[88:89], v[112:115]// 00000000355C: D3F30070 0DC2B1B8
	v_mfma_f32_16x16x32_fp8_fp8 v[112:115], a[186:187], v[90:91], v[112:115]// 000000003564: D3F30070 0DC2B5BA
	ds_write_b64 v20, v[240:241] offset:4624                   // 00000000356C: D89A1210 0000F014
	v_mfma_f32_16x16x32_fp8_fp8 v[116:119], a[192:193], v[88:89], v[116:119]// 000000003574: D3F30074 0DD2B1C0
	v_mfma_f32_16x16x32_fp8_fp8 v[116:119], a[194:195], v[90:91], v[116:119]// 00000000357C: D3F30074 0DD2B5C2
	ds_write_b64 v20, v[244:245] offset:8736                   // 000000003584: D89A2220 0000F414
	v_mfma_f32_16x16x32_fp8_fp8 v[120:123], a[200:201], v[88:89], v[120:123]// 00000000358C: D3F30078 0DE2B1C8
	v_mfma_f32_16x16x32_fp8_fp8 v[120:123], a[202:203], v[90:91], v[120:123]// 000000003594: D3F30078 0DE2B5CA
	ds_write_b64 v20, v[248:249] offset:12848                  // 00000000359C: D89A3230 0000F814
	s_waitcnt lgkmcnt(0)                                       // 0000000035A4: BF8CC07F
	s_barrier                                                  // 0000000035A8: BF8A0000
	s_mov_b32 s52, 0xc0c0400                                   // 0000000035AC: BEB400FF 0C0C0400
	s_mov_b32 s53, 0x4000c0c                                   // 0000000035B4: BEB500FF 04000C0C
	v_perm_b32 v56, v192, v188, s52                            // 0000000035BC: D1ED0038 00D379C0
	v_perm_b32 v57, v200, v196, s53                            // 0000000035C4: D1ED0039 00D789C8
	v_or_b32_e32 v58, v57, v56                                 // 0000000035CC: 28747139
	v_accvgpr_write_b32 a144, v58                              // 0000000035D0: D3D94090 1800013A
	v_perm_b32 v56, v208, v204, s52                            // 0000000035D8: D1ED0038 00D399D0
	v_perm_b32 v57, v216, v212, s53                            // 0000000035E0: D1ED0039 00D7A9D8
	v_or_b32_e32 v58, v57, v56                                 // 0000000035E8: 28747139
	v_accvgpr_write_b32 a145, v58                              // 0000000035EC: D3D94091 1800013A
	v_perm_b32 v56, v224, v220, s52                            // 0000000035F4: D1ED0038 00D3B9E0
	v_perm_b32 v57, v232, v228, s53                            // 0000000035FC: D1ED0039 00D7C9E8
	v_or_b32_e32 v58, v57, v56                                 // 000000003604: 28747139
	v_accvgpr_write_b32 a146, v58                              // 000000003608: D3D94092 1800013A
	v_perm_b32 v56, v240, v236, s52                            // 000000003610: D1ED0038 00D3D9F0
	v_perm_b32 v57, v248, v244, s53                            // 000000003618: D1ED0039 00D7E9F8
	v_or_b32_e32 v58, v57, v56                                 // 000000003620: 28747139
	v_accvgpr_write_b32 a147, v58                              // 000000003624: D3D94093 1800013A
	s_mov_b32 s52, 0xc0c0501                                   // 00000000362C: BEB400FF 0C0C0501
	s_mov_b32 s53, 0x5010c0c                                   // 000000003634: BEB500FF 05010C0C
	v_perm_b32 v56, v192, v188, s52                            // 00000000363C: D1ED0038 00D379C0
	v_perm_b32 v57, v200, v196, s53                            // 000000003644: D1ED0039 00D789C8
	v_or_b32_e32 v58, v57, v56                                 // 00000000364C: 28747139
	v_accvgpr_write_b32 a152, v58                              // 000000003650: D3D94098 1800013A
	v_perm_b32 v56, v208, v204, s52                            // 000000003658: D1ED0038 00D399D0
	v_perm_b32 v57, v216, v212, s53                            // 000000003660: D1ED0039 00D7A9D8
	v_or_b32_e32 v58, v57, v56                                 // 000000003668: 28747139
	v_accvgpr_write_b32 a153, v58                              // 00000000366C: D3D94099 1800013A
	v_perm_b32 v56, v224, v220, s52                            // 000000003674: D1ED0038 00D3B9E0
	v_perm_b32 v57, v232, v228, s53                            // 00000000367C: D1ED0039 00D7C9E8
	v_or_b32_e32 v58, v57, v56                                 // 000000003684: 28747139
	v_accvgpr_write_b32 a154, v58                              // 000000003688: D3D9409A 1800013A
	v_perm_b32 v56, v240, v236, s52                            // 000000003690: D1ED0038 00D3D9F0
	v_perm_b32 v57, v248, v244, s53                            // 000000003698: D1ED0039 00D7E9F8
	v_or_b32_e32 v58, v57, v56                                 // 0000000036A0: 28747139
	v_accvgpr_write_b32 a155, v58                              // 0000000036A4: D3D9409B 1800013A
	s_mov_b32 s52, 0xc0c0602                                   // 0000000036AC: BEB400FF 0C0C0602
	s_mov_b32 s53, 0x6020c0c                                   // 0000000036B4: BEB500FF 06020C0C
	v_perm_b32 v56, v192, v188, s52                            // 0000000036BC: D1ED0038 00D379C0
	v_perm_b32 v57, v200, v196, s53                            // 0000000036C4: D1ED0039 00D789C8
	v_or_b32_e32 v58, v57, v56                                 // 0000000036CC: 28747139
	v_accvgpr_write_b32 a160, v58                              // 0000000036D0: D3D940A0 1800013A
	v_perm_b32 v56, v208, v204, s52                            // 0000000036D8: D1ED0038 00D399D0
	v_perm_b32 v57, v216, v212, s53                            // 0000000036E0: D1ED0039 00D7A9D8
	v_or_b32_e32 v58, v57, v56                                 // 0000000036E8: 28747139
	v_accvgpr_write_b32 a161, v58                              // 0000000036EC: D3D940A1 1800013A
	v_perm_b32 v56, v224, v220, s52                            // 0000000036F4: D1ED0038 00D3B9E0
	v_perm_b32 v57, v232, v228, s53                            // 0000000036FC: D1ED0039 00D7C9E8
	v_or_b32_e32 v58, v57, v56                                 // 000000003704: 28747139
	v_accvgpr_write_b32 a162, v58                              // 000000003708: D3D940A2 1800013A
	v_perm_b32 v56, v240, v236, s52                            // 000000003710: D1ED0038 00D3D9F0
	v_perm_b32 v57, v248, v244, s53                            // 000000003718: D1ED0039 00D7E9F8
	v_or_b32_e32 v58, v57, v56                                 // 000000003720: 28747139
	v_accvgpr_write_b32 a163, v58                              // 000000003724: D3D940A3 1800013A
	s_mov_b32 s52, 0xc0c0703                                   // 00000000372C: BEB400FF 0C0C0703
	s_mov_b32 s53, 0x7030c0c                                   // 000000003734: BEB500FF 07030C0C
	v_perm_b32 v56, v192, v188, s52                            // 00000000373C: D1ED0038 00D379C0
	v_perm_b32 v57, v200, v196, s53                            // 000000003744: D1ED0039 00D789C8
	v_or_b32_e32 v58, v57, v56                                 // 00000000374C: 28747139
	v_accvgpr_write_b32 a168, v58                              // 000000003750: D3D940A8 1800013A
	v_perm_b32 v56, v208, v204, s52                            // 000000003758: D1ED0038 00D399D0
	v_perm_b32 v57, v216, v212, s53                            // 000000003760: D1ED0039 00D7A9D8
	v_or_b32_e32 v58, v57, v56                                 // 000000003768: 28747139
	v_accvgpr_write_b32 a169, v58                              // 00000000376C: D3D940A9 1800013A
	v_perm_b32 v56, v224, v220, s52                            // 000000003774: D1ED0038 00D3B9E0
	v_perm_b32 v57, v232, v228, s53                            // 00000000377C: D1ED0039 00D7C9E8
	v_or_b32_e32 v58, v57, v56                                 // 000000003784: 28747139
	v_accvgpr_write_b32 a170, v58                              // 000000003788: D3D940AA 1800013A
	v_perm_b32 v56, v240, v236, s52                            // 000000003790: D1ED0038 00D3D9F0
	v_perm_b32 v57, v248, v244, s53                            // 000000003798: D1ED0039 00D7E9F8
	v_or_b32_e32 v58, v57, v56                                 // 0000000037A0: 28747139
	v_accvgpr_write_b32 a171, v58                              // 0000000037A4: D3D940AB 1800013A
	s_mov_b32 s52, 0xc0c0400                                   // 0000000037AC: BEB400FF 0C0C0400
	s_mov_b32 s53, 0x4000c0c                                   // 0000000037B4: BEB500FF 04000C0C
	v_perm_b32 v56, v193, v189, s52                            // 0000000037BC: D1ED0038 00D37BC1
	v_perm_b32 v57, v201, v197, s53                            // 0000000037C4: D1ED0039 00D78BC9
	v_or_b32_e32 v58, v57, v56                                 // 0000000037CC: 28747139
	v_accvgpr_write_b32 a176, v58                              // 0000000037D0: D3D940B0 1800013A
	v_perm_b32 v56, v209, v205, s52                            // 0000000037D8: D1ED0038 00D39BD1
	v_perm_b32 v57, v217, v213, s53                            // 0000000037E0: D1ED0039 00D7ABD9
	v_or_b32_e32 v58, v57, v56                                 // 0000000037E8: 28747139
	v_accvgpr_write_b32 a177, v58                              // 0000000037EC: D3D940B1 1800013A
	v_perm_b32 v56, v225, v221, s52                            // 0000000037F4: D1ED0038 00D3BBE1
	v_perm_b32 v57, v233, v229, s53                            // 0000000037FC: D1ED0039 00D7CBE9
	v_or_b32_e32 v58, v57, v56                                 // 000000003804: 28747139
	v_accvgpr_write_b32 a178, v58                              // 000000003808: D3D940B2 1800013A
	v_perm_b32 v56, v241, v237, s52                            // 000000003810: D1ED0038 00D3DBF1
	v_perm_b32 v57, v249, v245, s53                            // 000000003818: D1ED0039 00D7EBF9
	v_or_b32_e32 v58, v57, v56                                 // 000000003820: 28747139
	v_accvgpr_write_b32 a179, v58                              // 000000003824: D3D940B3 1800013A
	s_mov_b32 s52, 0xc0c0501                                   // 00000000382C: BEB400FF 0C0C0501
	s_mov_b32 s53, 0x5010c0c                                   // 000000003834: BEB500FF 05010C0C
	v_perm_b32 v56, v193, v189, s52                            // 00000000383C: D1ED0038 00D37BC1
	v_perm_b32 v57, v201, v197, s53                            // 000000003844: D1ED0039 00D78BC9
	v_or_b32_e32 v58, v57, v56                                 // 00000000384C: 28747139
	v_accvgpr_write_b32 a184, v58                              // 000000003850: D3D940B8 1800013A
	v_perm_b32 v56, v209, v205, s52                            // 000000003858: D1ED0038 00D39BD1
	v_perm_b32 v57, v217, v213, s53                            // 000000003860: D1ED0039 00D7ABD9
	v_or_b32_e32 v58, v57, v56                                 // 000000003868: 28747139
	v_accvgpr_write_b32 a185, v58                              // 00000000386C: D3D940B9 1800013A
	v_perm_b32 v56, v225, v221, s52                            // 000000003874: D1ED0038 00D3BBE1
	v_perm_b32 v57, v233, v229, s53                            // 00000000387C: D1ED0039 00D7CBE9
	v_or_b32_e32 v58, v57, v56                                 // 000000003884: 28747139
	v_accvgpr_write_b32 a186, v58                              // 000000003888: D3D940BA 1800013A
	v_perm_b32 v56, v241, v237, s52                            // 000000003890: D1ED0038 00D3DBF1
	v_perm_b32 v57, v249, v245, s53                            // 000000003898: D1ED0039 00D7EBF9
	v_or_b32_e32 v58, v57, v56                                 // 0000000038A0: 28747139
	v_accvgpr_write_b32 a187, v58                              // 0000000038A4: D3D940BB 1800013A
	s_mov_b32 s52, 0xc0c0602                                   // 0000000038AC: BEB400FF 0C0C0602
	s_mov_b32 s53, 0x6020c0c                                   // 0000000038B4: BEB500FF 06020C0C
	v_perm_b32 v56, v193, v189, s52                            // 0000000038BC: D1ED0038 00D37BC1
	v_perm_b32 v57, v201, v197, s53                            // 0000000038C4: D1ED0039 00D78BC9
	v_or_b32_e32 v58, v57, v56                                 // 0000000038CC: 28747139
	v_accvgpr_write_b32 a192, v58                              // 0000000038D0: D3D940C0 1800013A
	v_perm_b32 v56, v209, v205, s52                            // 0000000038D8: D1ED0038 00D39BD1
	v_perm_b32 v57, v217, v213, s53                            // 0000000038E0: D1ED0039 00D7ABD9
	v_or_b32_e32 v58, v57, v56                                 // 0000000038E8: 28747139
	v_accvgpr_write_b32 a193, v58                              // 0000000038EC: D3D940C1 1800013A
	v_perm_b32 v56, v225, v221, s52                            // 0000000038F4: D1ED0038 00D3BBE1
	v_perm_b32 v57, v233, v229, s53                            // 0000000038FC: D1ED0039 00D7CBE9
	v_or_b32_e32 v58, v57, v56                                 // 000000003904: 28747139
	v_accvgpr_write_b32 a194, v58                              // 000000003908: D3D940C2 1800013A
	v_perm_b32 v56, v241, v237, s52                            // 000000003910: D1ED0038 00D3DBF1
	v_perm_b32 v57, v249, v245, s53                            // 000000003918: D1ED0039 00D7EBF9
	v_or_b32_e32 v58, v57, v56                                 // 000000003920: 28747139
	v_accvgpr_write_b32 a195, v58                              // 000000003924: D3D940C3 1800013A
	s_mov_b32 s52, 0xc0c0703                                   // 00000000392C: BEB400FF 0C0C0703
	s_mov_b32 s53, 0x7030c0c                                   // 000000003934: BEB500FF 07030C0C
	v_perm_b32 v56, v193, v189, s52                            // 00000000393C: D1ED0038 00D37BC1
	v_perm_b32 v57, v201, v197, s53                            // 000000003944: D1ED0039 00D78BC9
	v_or_b32_e32 v58, v57, v56                                 // 00000000394C: 28747139
	v_accvgpr_write_b32 a200, v58                              // 000000003950: D3D940C8 1800013A
	v_perm_b32 v56, v209, v205, s52                            // 000000003958: D1ED0038 00D39BD1
	v_perm_b32 v57, v217, v213, s53                            // 000000003960: D1ED0039 00D7ABD9
	v_or_b32_e32 v58, v57, v56                                 // 000000003968: 28747139
	v_accvgpr_write_b32 a201, v58                              // 00000000396C: D3D940C9 1800013A
	v_perm_b32 v56, v225, v221, s52                            // 000000003974: D1ED0038 00D3BBE1
	v_perm_b32 v57, v233, v229, s53                            // 00000000397C: D1ED0039 00D7CBE9
	v_or_b32_e32 v58, v57, v56                                 // 000000003984: 28747139
	v_accvgpr_write_b32 a202, v58                              // 000000003988: D3D940CA 1800013A
	v_perm_b32 v56, v241, v237, s52                            // 000000003990: D1ED0038 00D3DBF1
	v_perm_b32 v57, v249, v245, s53                            // 000000003998: D1ED0039 00D7EBF9
	v_or_b32_e32 v58, v57, v56                                 // 0000000039A0: 28747139
	v_accvgpr_write_b32 a203, v58                              // 0000000039A4: D3D940CB 1800013A
	s_addk_i32 s70, 0x1                                        // 0000000039AC: B7460001
	s_cmp_lt_i32 s70, s71                                      // 0000000039B0: BF044746
	s_cbranch_scc0 label_aligned_exit                          // 0000000039B4: BF84029C
	s_waitcnt vmcnt(8) lgkmcnt(0)                              // 0000000039B8: BF8C0078
	s_barrier                                                  // 0000000039BC: BF8A0000
	v_mfma_f32_16x16x32_fp8_fp8 v[88:91], a[72:73], a[0:1], 0  // 0000000039C0: D3F30058 1A020148
	ds_write_b64 v20, v[124:125]                               // 0000000039C8: D89A0000 00007C14
	v_mfma_f32_16x16x32_fp8_fp8 v[88:91], a[74:75], a[2:3], v[88:91]// 0000000039D0: D3F30058 1D62054A
	buffer_load_dwordx4 v[188:191], v40, s[20:23], 0 offen     // 0000000039D8: E05C1000 8005BC28
	v_mfma_f32_16x16x32_fp8_fp8 v[88:91], a[76:77], a[4:5], v[88:91]// 0000000039E0: D3F30058 1D62094C
	ds_write_b64 v20, v[128:129] offset:4112                   // 0000000039E8: D89A1010 00008014
	ds_write_b32 v21, v72 offset:32896                         // 0000000039F0: D81A8080 00004815
	ds_write_b32 v21, v73 offset:32960                         // 0000000039F8: D81A80C0 00004915
	v_mfma_f32_16x16x32_fp8_fp8 v[88:91], a[78:79], a[6:7], v[88:91]// 000000003A00: D3F30058 1D620D4E
	buffer_load_dword v25, v26, s[24:27], 0 offen              // 000000003A08: E0501000 8006191A
	v_mfma_f32_16x16x32_fp8_fp8 v[88:91], a[80:81], a[8:9], v[88:91]// 000000003A10: D3F30058 1D621150
	ds_write_b64 v20, v[132:133] offset:8224                   // 000000003A18: D89A2020 00008414
	ds_write_b32 v21, v74 offset:33032                         // 000000003A20: D81A8108 00004A15
	ds_write_b32 v21, v75 offset:33096                         // 000000003A28: D81A8148 00004B15
	v_mfma_f32_16x16x32_fp8_fp8 v[88:91], a[82:83], a[10:11], v[88:91]// 000000003A30: D3F30058 1D621552
	buffer_load_dwordx4 v[192:195], v41, s[20:23], 0 offen     // 000000003A38: E05C1000 8005C029
	v_mfma_f32_16x16x32_fp8_fp8 v[88:91], a[84:85], a[12:13], v[88:91]// 000000003A40: D3F30058 1D621954
	ds_write_b64 v20, v[136:137] offset:12336                  // 000000003A48: D89A3030 00008814
	ds_write_b32 v21, v76 offset:33168                         // 000000003A50: D81A8190 00004C15
	ds_write_b32 v21, v77 offset:33232                         // 000000003A58: D81A81D0 00004D15
	v_mfma_f32_16x16x32_fp8_fp8 v[88:91], a[86:87], a[14:15], v[88:91]// 000000003A60: D3F30058 1D621D56
	v_mfma_f32_16x16x32_fp8_fp8 v[88:91], a[88:89], a[16:17], v[88:91]// 000000003A68: D3F30058 1D622158
	ds_write_b64 v20, v[140:141] offset:512                    // 000000003A70: D89A0200 00008C14
	ds_write_b32 v21, v78 offset:33304                         // 000000003A78: D81A8218 00004E15
	ds_write_b32 v21, v79 offset:33368                         // 000000003A80: D81A8258 00004F15
	v_mfma_f32_16x16x32_fp8_fp8 v[88:91], a[90:91], a[18:19], v[88:91]// 000000003A88: D3F30058 1D62255A
	buffer_load_dwordx4 v[196:199], v42, s[20:23], 0 offen     // 000000003A90: E05C1000 8005C42A
	v_mfma_f32_16x16x32_fp8_fp8 v[88:91], a[92:93], a[20:21], v[88:91]// 000000003A98: D3F30058 1D62295C
	ds_write_b64 v20, v[144:145] offset:4624                   // 000000003AA0: D89A1210 00009014
	v_mfma_f32_16x16x32_fp8_fp8 v[88:91], a[94:95], a[22:23], v[88:91]// 000000003AA8: D3F30058 1D622D5E
	v_mfma_f32_16x16x32_fp8_fp8 v[88:91], a[96:97], a[24:25], v[88:91]// 000000003AB0: D3F30058 1D623160
	ds_write_b64 v20, v[148:149] offset:8736                   // 000000003AB8: D89A2220 00009414
	v_mfma_f32_16x16x32_fp8_fp8 v[88:91], a[98:99], a[26:27], v[88:91]// 000000003AC0: D3F30058 1D623562
	buffer_load_dwordx4 v[200:203], v43, s[20:23], 0 offen     // 000000003AC8: E05C1000 8005C82B
	v_mfma_f32_16x16x32_fp8_fp8 v[88:91], a[100:101], a[28:29], v[88:91]// 000000003AD0: D3F30058 1D623964
	ds_write_b64 v20, v[152:153] offset:12848                  // 000000003AD8: D89A3230 00009814
	v_mfma_f32_16x16x32_fp8_fp8 v[88:91], a[102:103], a[30:31], v[88:91]// 000000003AE0: D3F30058 1D623D66
	buffer_load_dword v80, v36, s[20:23], 0 offen              // 000000003AE8: E0501000 80055024
	buffer_load_dword v81, v36, s[20:23], 0 offen offset:32    // 000000003AF0: E0501020 80055124
	v_mfma_f32_16x16x32_fp8_fp8 v[88:91], a[104:105], a[32:33], v[88:91]// 000000003AF8: D3F30058 1D624168
	v_mfma_f32_16x16x32_fp8_fp8 v[88:91], a[106:107], a[34:35], v[88:91]// 000000003B00: D3F30058 1D62456A
	buffer_load_dwordx4 v[204:207], v44, s[20:23], 0 offen     // 000000003B08: E05C1000 8005CC2C
	buffer_load_dword v82, v37, s[20:23], 0 offen              // 000000003B10: E0501000 80055225
	buffer_load_dword v83, v37, s[20:23], 0 offen offset:32    // 000000003B18: E0501020 80055325
	s_waitcnt lgkmcnt(0)                                       // 000000003B20: BF8CC07F
	s_barrier                                                  // 000000003B24: BF8A0000
	ds_read_b64 a[72:73], v22                                  // 000000003B28: DAEC0000 48000016
	ds_read_b64 a[74:75], v22 offset:32                        // 000000003B30: DAEC0020 4A000016
	ds_read_b64 a[76:77], v22 offset:64                        // 000000003B38: DAEC0040 4C000016
	ds_read_b64 a[78:79], v22 offset:96                        // 000000003B40: DAEC0060 4E000016
	ds_read_b64 a[80:81], v22 offset:128                       // 000000003B48: DAEC0080 50000016
	ds_read_b64 a[82:83], v22 offset:160                       // 000000003B50: DAEC00A0 52000016
	ds_read_b64 a[84:85], v22 offset:192                       // 000000003B58: DAEC00C0 54000016
	ds_read_b64 a[86:87], v22 offset:224                       // 000000003B60: DAEC00E0 56000016
	ds_read_b64 a[88:89], v22 offset:256                       // 000000003B68: DAEC0100 58000016
	ds_read_b64 a[90:91], v22 offset:288                       // 000000003B70: DAEC0120 5A000016
	ds_read_b64 a[92:93], v22 offset:320                       // 000000003B78: DAEC0140 5C000016
	ds_read_b64 a[94:95], v22 offset:352                       // 000000003B80: DAEC0160 5E000016
	ds_read_b64 a[96:97], v22 offset:384                       // 000000003B88: DAEC0180 60000016
	ds_read_b64 a[98:99], v22 offset:416                       // 000000003B90: DAEC01A0 62000016
	ds_read_b64 a[100:101], v22 offset:448                     // 000000003B98: DAEC01C0 64000016
	ds_read_b64 a[102:103], v22 offset:480                     // 000000003BA0: DAEC01E0 66000016
	ds_read_b64 a[104:105], v23 offset:32896                   // 000000003BA8: DAEC8080 68000017
	ds_read_b64 a[106:107], v23 offset:32928                   // 000000003BB0: DAEC80A0 6A000017
	ds_read_b64 a[108:109], v23 offset:32960                   // 000000003BB8: DAEC80C0 6C000017
	ds_read_b64 a[110:111], v23 offset:32992                   // 000000003BC0: DAEC80E0 6E000017
	s_waitcnt lgkmcnt(0)                                       // 000000003BC8: BF8CC07F
	v_add_u32_e32 v26, s73, v26                                // 000000003BCC: 68343449
	buffer_load_dword v84, v38, s[20:23], 0 offen              // 000000003BD0: E0501000 80055426
	buffer_load_dword v85, v38, s[20:23], 0 offen offset:32    // 000000003BD8: E0501020 80055526
	s_nop 8                                                    // 000000003BE0: BF800008
	v_mov_b32_e32 v8, v88                                      // 000000003BE4: 7E100358
	v_max3_f32 v8, v88, v89, v8                                // 000000003BE8: D1D30008 0422B358
	v_max3_f32 v8, v90, v91, v8                                // 000000003BF0: D1D30008 0422B75A
	ds_write_b32 v5, v8 offset:41600                           // 000000003BF8: D81AA280 00000805
	buffer_load_dword v86, v39, s[20:23], 0 offen              // 000000003C00: E0501000 80055627
	buffer_load_dword v87, v39, s[20:23], 0 offen offset:32    // 000000003C08: E0501020 80055727
	s_waitcnt lgkmcnt(0)                                       // 000000003C10: BF8CC07F
	s_barrier                                                  // 000000003C14: BF8A0000
	ds_read_b32 v56, v4 offset:41600                           // 000000003C18: D86CA280 38000004
	buffer_load_dwordx4 v[208:211], v45, s[20:23], 0 offen     // 000000003C20: E05C1000 8005D02D
	ds_read_b32 v57, v4 offset:41664                           // 000000003C28: D86CA2C0 39000004
	ds_read_b32 v58, v4 offset:41728                           // 000000003C30: D86CA300 3A000004
	ds_read_b32 v59, v4 offset:41792                           // 000000003C38: D86CA340 3B000004
	ds_read_b32 v60, v4 offset:41856                           // 000000003C40: D86CA380 3C000004
	ds_read_b32 v61, v4 offset:41920                           // 000000003C48: D86CA3C0 3D000004
	ds_read_b32 v62, v4 offset:41984                           // 000000003C50: D86CA400 3E000004
	ds_read_b32 v63, v4 offset:42048                           // 000000003C58: D86CA440 3F000004
	ds_read_b32 v64, v4 offset:42112                           // 000000003C60: D86CA480 40000004
	buffer_load_dwordx4 v[212:215], v46, s[20:23], 0 offen     // 000000003C68: E05C1000 8005D42E
	ds_read_b32 v65, v4 offset:42176                           // 000000003C70: D86CA4C0 41000004
	ds_read_b32 v66, v4 offset:42240                           // 000000003C78: D86CA500 42000004
	ds_read_b32 v67, v4 offset:42304                           // 000000003C80: D86CA540 43000004
	ds_read_b32 v68, v4 offset:42368                           // 000000003C88: D86CA580 44000004
	ds_read_b32 v69, v4 offset:42432                           // 000000003C90: D86CA5C0 45000004
	ds_read_b32 v70, v4 offset:42496                           // 000000003C98: D86CA600 46000004
	ds_read_b32 v71, v4 offset:42560                           // 000000003CA0: D86CA640 47000004
	buffer_load_dwordx4 v[216:219], v47, s[20:23], 0 offen     // 000000003CA8: E05C1000 8005D82F
	s_waitcnt lgkmcnt(0)                                       // 000000003CB0: BF8CC07F
	v_max3_f32 v8, v56, v57, v8                                // 000000003CB4: D1D30008 04227338
	v_max3_f32 v8, v58, v59, v8                                // 000000003CBC: D1D30008 0422773A
	v_max3_f32 v8, v60, v61, v8                                // 000000003CC4: D1D30008 04227B3C
	v_max3_f32 v8, v62, v63, v8                                // 000000003CCC: D1D30008 04227F3E
	v_max3_f32 v8, v64, v65, v8                                // 000000003CD4: D1D30008 04228340
	v_max3_f32 v8, v66, v67, v8                                // 000000003CDC: D1D30008 04228742
	v_max3_f32 v8, v68, v69, v8                                // 000000003CE4: D1D30008 04228B44
	v_max3_f32 v8, v70, v71, v8                                // 000000003CEC: D1D30008 04228F46
	buffer_load_dwordx4 v[220:223], v48, s[20:23], 0 offen     // 000000003CF4: E05C1000 8005DC30
	v_cmp_eq_u32_e64 s[32:33], v11, v12                        // 000000003CFC: D0CA0020 0002190B
	v_max_f32_e32 v13, v8, v12                                 // 000000003D04: 161A1908
	v_sub_f32_e32 v18, v12, v13                                // 000000003D08: 04241B0C
	v_cndmask_b32_e64 v18, v18, 0, s[32:33]                    // 000000003D0C: D1000012 00810112
	v_mov_b32_e32 v12, v13                                     // 000000003D14: 7E18030D
	v_mul_f32_e32 v9, s5, v13                                  // 000000003D18: 0A121A05
	v_mul_f32_e32 v18, s5, v18                                 // 000000003D1C: 0A242405
	v_exp_f32_e32 v18, v18                                     // 000000003D20: 7E244112
	buffer_load_dwordx4 v[224:227], v49, s[20:23], 0 offen     // 000000003D24: E05C1000 8005E031
	v_fma_f32 v88, v88, s5, -v9                                // 000000003D2C: D1CB0058 84240B58
	v_fma_f32 v89, v89, s5, -v9                                // 000000003D34: D1CB0059 84240B59
	v_fma_f32 v90, v90, s5, -v9                                // 000000003D3C: D1CB005A 84240B5A
	v_fma_f32 v91, v91, s5, -v9                                // 000000003D44: D1CB005B 84240B5B
	v_exp_f32_e32 v88, v88                                     // 000000003D4C: 7EB04158
	v_exp_f32_e32 v89, v89                                     // 000000003D50: 7EB24159
	v_exp_f32_e32 v90, v90                                     // 000000003D54: 7EB4415A
	v_exp_f32_e32 v91, v91                                     // 000000003D58: 7EB6415B
	buffer_load_dwordx4 v[228:231], v50, s[20:23], 0 offen     // 000000003D5C: E05C1000 8005E432
	v_mul_f32_e32 v14, v18, v14                                // 000000003D64: 0A1C1D12
	v_mov_b32_e32 v15, v88                                     // 000000003D68: 7E1E0358
	v_add_f32_e32 v15, v89, v15                                // 000000003D6C: 021E1F59
	v_add_f32_e32 v15, v90, v15                                // 000000003D70: 021E1F5A
	v_add_f32_e32 v15, v91, v15                                // 000000003D74: 021E1F5B
	v_add_f32_e32 v14, v15, v14                                // 000000003D78: 021C1D0F
	buffer_load_dwordx4 v[232:235], v51, s[20:23], 0 offen     // 000000003D7C: E05C1000 8005E833
	v_cvt_pk_fp8_f32 v88, v88, v89                             // 000000003D84: D2A20058 0002B358
	s_nop 1                                                    // 000000003D8C: BF800001
	v_cvt_pk_fp8_f32 v88, v90, v91 op_sel:[0,0,1]              // 000000003D90: D2A24058 0002B75A
	ds_write_b32 v7, v88 offset:42624                          // 000000003D98: D81AA680 00005807
	buffer_load_dwordx4 v[236:239], v52, s[20:23], 0 offen     // 000000003DA0: E05C1000 8005EC34
	buffer_load_dwordx4 v[240:243], v53, s[20:23], 0 offen     // 000000003DA8: E05C1000 8005F035
	buffer_load_dwordx4 v[244:247], v54, s[20:23], 0 offen     // 000000003DB0: E05C1000 8005F436
	buffer_load_dwordx4 v[248:251], v55, s[20:23], 0 offen     // 000000003DB8: E05C1000 8005F837
	s_waitcnt lgkmcnt(0)                                       // 000000003DC0: BF8CC07F
	s_barrier                                                  // 000000003DC4: BF8A0000
	ds_read_b32 v88, v6 offset:42624                           // 000000003DC8: D86CA680 58000006
	ds_read_b32 v89, v6 offset:42688                           // 000000003DD0: D86CA6C0 59000006
	ds_read_b32 v90, v6 offset:43136                           // 000000003DD8: D86CA880 5A000006
	ds_read_b32 v91, v6 offset:43200                           // 000000003DE0: D86CA8C0 5B000006
	v_mul_u32_u24_dpp v40, v24, v10 row_newbcast:0 row_mask:0xf bank_mask:0xf// 000000003DE8: 105014FA FF015018
	v_mul_u32_u24_dpp v41, v24, v10 row_newbcast:1 row_mask:0xf bank_mask:0xf// 000000003DF0: 105214FA FF015118
	v_mul_u32_u24_dpp v42, v24, v10 row_newbcast:2 row_mask:0xf bank_mask:0xf// 000000003DF8: 105414FA FF015218
	v_mul_u32_u24_dpp v43, v24, v10 row_newbcast:3 row_mask:0xf bank_mask:0xf// 000000003E00: 105614FA FF015318
	v_mul_u32_u24_dpp v44, v24, v10 row_newbcast:4 row_mask:0xf bank_mask:0xf// 000000003E08: 105814FA FF015418
	v_mul_u32_u24_dpp v45, v24, v10 row_newbcast:5 row_mask:0xf bank_mask:0xf// 000000003E10: 105A14FA FF015518
	v_mul_u32_u24_dpp v46, v24, v10 row_newbcast:6 row_mask:0xf bank_mask:0xf// 000000003E18: 105C14FA FF015618
	v_mul_u32_u24_dpp v47, v24, v10 row_newbcast:7 row_mask:0xf bank_mask:0xf// 000000003E20: 105E14FA FF015718
	v_mul_u32_u24_dpp v48, v24, v10 row_newbcast:8 row_mask:0xf bank_mask:0xf// 000000003E28: 106014FA FF015818
	v_mul_u32_u24_dpp v49, v24, v10 row_newbcast:9 row_mask:0xf bank_mask:0xf// 000000003E30: 106214FA FF015918
	v_mul_u32_u24_dpp v50, v24, v10 row_newbcast:10 row_mask:0xf bank_mask:0xf// 000000003E38: 106414FA FF015A18
	v_mul_u32_u24_dpp v51, v24, v10 row_newbcast:11 row_mask:0xf bank_mask:0xf// 000000003E40: 106614FA FF015B18
	v_mul_u32_u24_dpp v52, v24, v10 row_newbcast:12 row_mask:0xf bank_mask:0xf// 000000003E48: 106814FA FF015C18
	v_mul_u32_u24_dpp v53, v24, v10 row_newbcast:13 row_mask:0xf bank_mask:0xf// 000000003E50: 106A14FA FF015D18
	v_mul_u32_u24_dpp v54, v24, v10 row_newbcast:14 row_mask:0xf bank_mask:0xf// 000000003E58: 106C14FA FF015E18
	v_mul_u32_u24_dpp v55, v24, v10 row_newbcast:15 row_mask:0xf bank_mask:0xf// 000000003E60: 106E14FA FF015F18
	s_mov_b32 s56, m0                                          // 000000003E68: BEB8007C
	s_set_gpr_idx_on s51, gpr_idx(SRC0)                        // 000000003E6C: BF110133
	v_add_u32_e32 v36, v40, v3                                 // 000000003E70: 68480728
	v_add_u32_e32 v37, v41, v3                                 // 000000003E74: 684A0729
	v_add_u32_e32 v38, v42, v3                                 // 000000003E78: 684C072A
	v_add_u32_e32 v39, v43, v3                                 // 000000003E7C: 684E072B
	s_set_gpr_idx_off                                          // 000000003E80: BF9C0000
	s_mov_b32 m0, s56                                          // 000000003E84: BEFC0038
	v_add_u32_e32 v40, v40, v2                                 // 000000003E88: 68500528
	v_add_u32_e32 v41, v41, v2                                 // 000000003E8C: 68520529
	v_add_u32_e32 v42, v42, v2                                 // 000000003E90: 6854052A
	v_add_u32_e32 v43, v43, v2                                 // 000000003E94: 6856052B
	v_add_u32_e32 v44, v44, v2                                 // 000000003E98: 6858052C
	v_add_u32_e32 v45, v45, v2                                 // 000000003E9C: 685A052D
	v_add_u32_e32 v46, v46, v2                                 // 000000003EA0: 685C052E
	v_add_u32_e32 v47, v47, v2                                 // 000000003EA4: 685E052F
	v_add_u32_e32 v48, v48, v2                                 // 000000003EA8: 68600530
	v_add_u32_e32 v49, v49, v2                                 // 000000003EAC: 68620531
	v_add_u32_e32 v50, v50, v2                                 // 000000003EB0: 68640532
	v_add_u32_e32 v51, v51, v2                                 // 000000003EB4: 68660533
	v_add_u32_e32 v52, v52, v2                                 // 000000003EB8: 68680534
	v_add_u32_e32 v53, v53, v2                                 // 000000003EBC: 686A0535
	v_add_u32_e32 v54, v54, v2                                 // 000000003EC0: 686C0536
	v_add_u32_e32 v55, v55, v2                                 // 000000003EC4: 686E0537
	s_waitcnt lgkmcnt(0)                                       // 000000003EC8: BF8CC07F
	v_mul_f32_e32 v92, v18, v92                                // 000000003ECC: 0AB8B912
	v_mul_f32_e32 v93, v18, v93                                // 000000003ED0: 0ABABB12
	v_mul_f32_e32 v94, v18, v94                                // 000000003ED4: 0ABCBD12
	v_mul_f32_e32 v95, v18, v95                                // 000000003ED8: 0ABEBF12
	v_mul_f32_e32 v96, v18, v96                                // 000000003EDC: 0AC0C112
	v_mul_f32_e32 v97, v18, v97                                // 000000003EE0: 0AC2C312
	v_mul_f32_e32 v98, v18, v98                                // 000000003EE4: 0AC4C512
	v_mul_f32_e32 v99, v18, v99                                // 000000003EE8: 0AC6C712
	v_mul_f32_e32 v100, v18, v100                              // 000000003EEC: 0AC8C912
	v_mul_f32_e32 v101, v18, v101                              // 000000003EF0: 0ACACB12
	v_mul_f32_e32 v102, v18, v102                              // 000000003EF4: 0ACCCD12
	v_mul_f32_e32 v103, v18, v103                              // 000000003EF8: 0ACECF12
	v_mul_f32_e32 v104, v18, v104                              // 000000003EFC: 0AD0D112
	v_mul_f32_e32 v105, v18, v105                              // 000000003F00: 0AD2D312
	v_mul_f32_e32 v106, v18, v106                              // 000000003F04: 0AD4D512
	v_mul_f32_e32 v107, v18, v107                              // 000000003F08: 0AD6D712
	v_mul_f32_e32 v108, v18, v108                              // 000000003F0C: 0AD8D912
	v_mul_f32_e32 v109, v18, v109                              // 000000003F10: 0ADADB12
	v_mul_f32_e32 v110, v18, v110                              // 000000003F14: 0ADCDD12
	v_mul_f32_e32 v111, v18, v111                              // 000000003F18: 0ADEDF12
	v_mul_f32_e32 v112, v18, v112                              // 000000003F1C: 0AE0E112
	v_mul_f32_e32 v113, v18, v113                              // 000000003F20: 0AE2E312
	v_mul_f32_e32 v114, v18, v114                              // 000000003F24: 0AE4E512
	v_mul_f32_e32 v115, v18, v115                              // 000000003F28: 0AE6E712
	v_mul_f32_e32 v116, v18, v116                              // 000000003F2C: 0AE8E912
	v_mul_f32_e32 v117, v18, v117                              // 000000003F30: 0AEAEB12
	v_mul_f32_e32 v118, v18, v118                              // 000000003F34: 0AECED12
	v_mul_f32_e32 v119, v18, v119                              // 000000003F38: 0AEEEF12
	v_mul_f32_e32 v120, v18, v120                              // 000000003F3C: 0AF0F112
	v_mul_f32_e32 v121, v18, v121                              // 000000003F40: 0AF2F312
	v_mul_f32_e32 v122, v18, v122                              // 000000003F44: 0AF4F512
	v_mul_f32_e32 v123, v18, v123                              // 000000003F48: 0AF6F712
	s_waitcnt vmcnt(25)                                        // 000000003F4C: BF8C4F79
	v_mfma_f32_16x16x32_fp8_fp8 v[92:95], a[144:145], v[88:89], v[92:95]// 000000003F50: D3F3005C 0D72B190
	v_mfma_f32_16x16x32_fp8_fp8 v[92:95], a[146:147], v[90:91], v[92:95]// 000000003F58: D3F3005C 0D72B592
	ds_write_b64 v20, v[156:157]                               // 000000003F60: D89A0000 00009C14
	v_mfma_f32_16x16x32_fp8_fp8 v[96:99], a[152:153], v[88:89], v[96:99]// 000000003F68: D3F30060 0D82B198
	v_mfma_f32_16x16x32_fp8_fp8 v[96:99], a[154:155], v[90:91], v[96:99]// 000000003F70: D3F30060 0D82B59A
	ds_write_b64 v20, v[160:161] offset:4112                   // 000000003F78: D89A1010 0000A014
	v_mfma_f32_16x16x32_fp8_fp8 v[100:103], a[160:161], v[88:89], v[100:103]// 000000003F80: D3F30064 0D92B1A0
	v_mfma_f32_16x16x32_fp8_fp8 v[100:103], a[162:163], v[90:91], v[100:103]// 000000003F88: D3F30064 0D92B5A2
	ds_write_b64 v20, v[164:165] offset:8224                   // 000000003F90: D89A2020 0000A414
	v_mfma_f32_16x16x32_fp8_fp8 v[104:107], a[168:169], v[88:89], v[104:107]// 000000003F98: D3F30068 0DA2B1A8
	v_mfma_f32_16x16x32_fp8_fp8 v[104:107], a[170:171], v[90:91], v[104:107]// 000000003FA0: D3F30068 0DA2B5AA
	ds_write_b64 v20, v[168:169] offset:12336                  // 000000003FA8: D89A3030 0000A814
	v_mfma_f32_16x16x32_fp8_fp8 v[108:111], a[176:177], v[88:89], v[108:111]// 000000003FB0: D3F3006C 0DB2B1B0
	v_mfma_f32_16x16x32_fp8_fp8 v[108:111], a[178:179], v[90:91], v[108:111]// 000000003FB8: D3F3006C 0DB2B5B2
	ds_write_b64 v20, v[172:173] offset:512                    // 000000003FC0: D89A0200 0000AC14
	v_mfma_f32_16x16x32_fp8_fp8 v[112:115], a[184:185], v[88:89], v[112:115]// 000000003FC8: D3F30070 0DC2B1B8
	v_mfma_f32_16x16x32_fp8_fp8 v[112:115], a[186:187], v[90:91], v[112:115]// 000000003FD0: D3F30070 0DC2B5BA
	ds_write_b64 v20, v[176:177] offset:4624                   // 000000003FD8: D89A1210 0000B014
	v_mfma_f32_16x16x32_fp8_fp8 v[116:119], a[192:193], v[88:89], v[116:119]// 000000003FE0: D3F30074 0DD2B1C0
	v_mfma_f32_16x16x32_fp8_fp8 v[116:119], a[194:195], v[90:91], v[116:119]// 000000003FE8: D3F30074 0DD2B5C2
	ds_write_b64 v20, v[180:181] offset:8736                   // 000000003FF0: D89A2220 0000B414
	v_mfma_f32_16x16x32_fp8_fp8 v[120:123], a[200:201], v[88:89], v[120:123]// 000000003FF8: D3F30078 0DE2B1C8
	v_mfma_f32_16x16x32_fp8_fp8 v[120:123], a[202:203], v[90:91], v[120:123]// 000000004000: D3F30078 0DE2B5CA
	ds_write_b64 v20, v[184:185] offset:12848                  // 000000004008: D89A3230 0000B814
	s_waitcnt lgkmcnt(0)                                       // 000000004010: BF8CC07F
	s_barrier                                                  // 000000004014: BF8A0000
	s_mov_b32 s52, 0xc0c0400                                   // 000000004018: BEB400FF 0C0C0400
	s_mov_b32 s53, 0x4000c0c                                   // 000000004020: BEB500FF 04000C0C
	v_perm_b32 v56, v128, v124, s52                            // 000000004028: D1ED0038 00D2F980
	v_perm_b32 v57, v136, v132, s53                            // 000000004030: D1ED0039 00D70988
	v_or_b32_e32 v58, v57, v56                                 // 000000004038: 28747139
	v_accvgpr_write_b32 a144, v58                              // 00000000403C: D3D94090 1800013A
	v_perm_b32 v56, v144, v140, s52                            // 000000004044: D1ED0038 00D31990
	v_perm_b32 v57, v152, v148, s53                            // 00000000404C: D1ED0039 00D72998
	v_or_b32_e32 v58, v57, v56                                 // 000000004054: 28747139
	v_accvgpr_write_b32 a145, v58                              // 000000004058: D3D94091 1800013A
	v_perm_b32 v56, v160, v156, s52                            // 000000004060: D1ED0038 00D339A0
	v_perm_b32 v57, v168, v164, s53                            // 000000004068: D1ED0039 00D749A8
	v_or_b32_e32 v58, v57, v56                                 // 000000004070: 28747139
	v_accvgpr_write_b32 a146, v58                              // 000000004074: D3D94092 1800013A
	v_perm_b32 v56, v176, v172, s52                            // 00000000407C: D1ED0038 00D359B0
	v_perm_b32 v57, v184, v180, s53                            // 000000004084: D1ED0039 00D769B8
	v_or_b32_e32 v58, v57, v56                                 // 00000000408C: 28747139
	v_accvgpr_write_b32 a147, v58                              // 000000004090: D3D94093 1800013A
	s_mov_b32 s52, 0xc0c0501                                   // 000000004098: BEB400FF 0C0C0501
	s_mov_b32 s53, 0x5010c0c                                   // 0000000040A0: BEB500FF 05010C0C
	v_perm_b32 v56, v128, v124, s52                            // 0000000040A8: D1ED0038 00D2F980
	v_perm_b32 v57, v136, v132, s53                            // 0000000040B0: D1ED0039 00D70988
	v_or_b32_e32 v58, v57, v56                                 // 0000000040B8: 28747139
	v_accvgpr_write_b32 a152, v58                              // 0000000040BC: D3D94098 1800013A
	v_perm_b32 v56, v144, v140, s52                            // 0000000040C4: D1ED0038 00D31990
	v_perm_b32 v57, v152, v148, s53                            // 0000000040CC: D1ED0039 00D72998
	v_or_b32_e32 v58, v57, v56                                 // 0000000040D4: 28747139
	v_accvgpr_write_b32 a153, v58                              // 0000000040D8: D3D94099 1800013A
	v_perm_b32 v56, v160, v156, s52                            // 0000000040E0: D1ED0038 00D339A0
	v_perm_b32 v57, v168, v164, s53                            // 0000000040E8: D1ED0039 00D749A8
	v_or_b32_e32 v58, v57, v56                                 // 0000000040F0: 28747139
	v_accvgpr_write_b32 a154, v58                              // 0000000040F4: D3D9409A 1800013A
	v_perm_b32 v56, v176, v172, s52                            // 0000000040FC: D1ED0038 00D359B0
	v_perm_b32 v57, v184, v180, s53                            // 000000004104: D1ED0039 00D769B8
	v_or_b32_e32 v58, v57, v56                                 // 00000000410C: 28747139
	v_accvgpr_write_b32 a155, v58                              // 000000004110: D3D9409B 1800013A
	s_mov_b32 s52, 0xc0c0602                                   // 000000004118: BEB400FF 0C0C0602
	s_mov_b32 s53, 0x6020c0c                                   // 000000004120: BEB500FF 06020C0C
	v_perm_b32 v56, v128, v124, s52                            // 000000004128: D1ED0038 00D2F980
	v_perm_b32 v57, v136, v132, s53                            // 000000004130: D1ED0039 00D70988
	v_or_b32_e32 v58, v57, v56                                 // 000000004138: 28747139
	v_accvgpr_write_b32 a160, v58                              // 00000000413C: D3D940A0 1800013A
	v_perm_b32 v56, v144, v140, s52                            // 000000004144: D1ED0038 00D31990
	v_perm_b32 v57, v152, v148, s53                            // 00000000414C: D1ED0039 00D72998
	v_or_b32_e32 v58, v57, v56                                 // 000000004154: 28747139
	v_accvgpr_write_b32 a161, v58                              // 000000004158: D3D940A1 1800013A
	v_perm_b32 v56, v160, v156, s52                            // 000000004160: D1ED0038 00D339A0
	v_perm_b32 v57, v168, v164, s53                            // 000000004168: D1ED0039 00D749A8
	v_or_b32_e32 v58, v57, v56                                 // 000000004170: 28747139
	v_accvgpr_write_b32 a162, v58                              // 000000004174: D3D940A2 1800013A
	v_perm_b32 v56, v176, v172, s52                            // 00000000417C: D1ED0038 00D359B0
	v_perm_b32 v57, v184, v180, s53                            // 000000004184: D1ED0039 00D769B8
	v_or_b32_e32 v58, v57, v56                                 // 00000000418C: 28747139
	v_accvgpr_write_b32 a163, v58                              // 000000004190: D3D940A3 1800013A
	s_mov_b32 s52, 0xc0c0703                                   // 000000004198: BEB400FF 0C0C0703
	s_mov_b32 s53, 0x7030c0c                                   // 0000000041A0: BEB500FF 07030C0C
	v_perm_b32 v56, v128, v124, s52                            // 0000000041A8: D1ED0038 00D2F980
	v_perm_b32 v57, v136, v132, s53                            // 0000000041B0: D1ED0039 00D70988
	v_or_b32_e32 v58, v57, v56                                 // 0000000041B8: 28747139
	v_accvgpr_write_b32 a168, v58                              // 0000000041BC: D3D940A8 1800013A
	v_perm_b32 v56, v144, v140, s52                            // 0000000041C4: D1ED0038 00D31990
	v_perm_b32 v57, v152, v148, s53                            // 0000000041CC: D1ED0039 00D72998
	v_or_b32_e32 v58, v57, v56                                 // 0000000041D4: 28747139
	v_accvgpr_write_b32 a169, v58                              // 0000000041D8: D3D940A9 1800013A
	v_perm_b32 v56, v160, v156, s52                            // 0000000041E0: D1ED0038 00D339A0
	v_perm_b32 v57, v168, v164, s53                            // 0000000041E8: D1ED0039 00D749A8
	v_or_b32_e32 v58, v57, v56                                 // 0000000041F0: 28747139
	v_accvgpr_write_b32 a170, v58                              // 0000000041F4: D3D940AA 1800013A
	v_perm_b32 v56, v176, v172, s52                            // 0000000041FC: D1ED0038 00D359B0
	v_perm_b32 v57, v184, v180, s53                            // 000000004204: D1ED0039 00D769B8
	v_or_b32_e32 v58, v57, v56                                 // 00000000420C: 28747139
	v_accvgpr_write_b32 a171, v58                              // 000000004210: D3D940AB 1800013A
	s_mov_b32 s52, 0xc0c0400                                   // 000000004218: BEB400FF 0C0C0400
	s_mov_b32 s53, 0x4000c0c                                   // 000000004220: BEB500FF 04000C0C
	v_perm_b32 v56, v129, v125, s52                            // 000000004228: D1ED0038 00D2FB81
	v_perm_b32 v57, v137, v133, s53                            // 000000004230: D1ED0039 00D70B89
	v_or_b32_e32 v58, v57, v56                                 // 000000004238: 28747139
	v_accvgpr_write_b32 a176, v58                              // 00000000423C: D3D940B0 1800013A
	v_perm_b32 v56, v145, v141, s52                            // 000000004244: D1ED0038 00D31B91
	v_perm_b32 v57, v153, v149, s53                            // 00000000424C: D1ED0039 00D72B99
	v_or_b32_e32 v58, v57, v56                                 // 000000004254: 28747139
	v_accvgpr_write_b32 a177, v58                              // 000000004258: D3D940B1 1800013A
	v_perm_b32 v56, v161, v157, s52                            // 000000004260: D1ED0038 00D33BA1
	v_perm_b32 v57, v169, v165, s53                            // 000000004268: D1ED0039 00D74BA9
	v_or_b32_e32 v58, v57, v56                                 // 000000004270: 28747139
	v_accvgpr_write_b32 a178, v58                              // 000000004274: D3D940B2 1800013A
	v_perm_b32 v56, v177, v173, s52                            // 00000000427C: D1ED0038 00D35BB1
	v_perm_b32 v57, v185, v181, s53                            // 000000004284: D1ED0039 00D76BB9
	v_or_b32_e32 v58, v57, v56                                 // 00000000428C: 28747139
	v_accvgpr_write_b32 a179, v58                              // 000000004290: D3D940B3 1800013A
	s_mov_b32 s52, 0xc0c0501                                   // 000000004298: BEB400FF 0C0C0501
	s_mov_b32 s53, 0x5010c0c                                   // 0000000042A0: BEB500FF 05010C0C
	v_perm_b32 v56, v129, v125, s52                            // 0000000042A8: D1ED0038 00D2FB81
	v_perm_b32 v57, v137, v133, s53                            // 0000000042B0: D1ED0039 00D70B89
	v_or_b32_e32 v58, v57, v56                                 // 0000000042B8: 28747139
	v_accvgpr_write_b32 a184, v58                              // 0000000042BC: D3D940B8 1800013A
	v_perm_b32 v56, v145, v141, s52                            // 0000000042C4: D1ED0038 00D31B91
	v_perm_b32 v57, v153, v149, s53                            // 0000000042CC: D1ED0039 00D72B99
	v_or_b32_e32 v58, v57, v56                                 // 0000000042D4: 28747139
	v_accvgpr_write_b32 a185, v58                              // 0000000042D8: D3D940B9 1800013A
	v_perm_b32 v56, v161, v157, s52                            // 0000000042E0: D1ED0038 00D33BA1
	v_perm_b32 v57, v169, v165, s53                            // 0000000042E8: D1ED0039 00D74BA9
	v_or_b32_e32 v58, v57, v56                                 // 0000000042F0: 28747139
	v_accvgpr_write_b32 a186, v58                              // 0000000042F4: D3D940BA 1800013A
	v_perm_b32 v56, v177, v173, s52                            // 0000000042FC: D1ED0038 00D35BB1
	v_perm_b32 v57, v185, v181, s53                            // 000000004304: D1ED0039 00D76BB9
	v_or_b32_e32 v58, v57, v56                                 // 00000000430C: 28747139
	v_accvgpr_write_b32 a187, v58                              // 000000004310: D3D940BB 1800013A
	s_mov_b32 s52, 0xc0c0602                                   // 000000004318: BEB400FF 0C0C0602
	s_mov_b32 s53, 0x6020c0c                                   // 000000004320: BEB500FF 06020C0C
	v_perm_b32 v56, v129, v125, s52                            // 000000004328: D1ED0038 00D2FB81
	v_perm_b32 v57, v137, v133, s53                            // 000000004330: D1ED0039 00D70B89
	v_or_b32_e32 v58, v57, v56                                 // 000000004338: 28747139
	v_accvgpr_write_b32 a192, v58                              // 00000000433C: D3D940C0 1800013A
	v_perm_b32 v56, v145, v141, s52                            // 000000004344: D1ED0038 00D31B91
	v_perm_b32 v57, v153, v149, s53                            // 00000000434C: D1ED0039 00D72B99
	v_or_b32_e32 v58, v57, v56                                 // 000000004354: 28747139
	v_accvgpr_write_b32 a193, v58                              // 000000004358: D3D940C1 1800013A
	v_perm_b32 v56, v161, v157, s52                            // 000000004360: D1ED0038 00D33BA1
	v_perm_b32 v57, v169, v165, s53                            // 000000004368: D1ED0039 00D74BA9
	v_or_b32_e32 v58, v57, v56                                 // 000000004370: 28747139
	v_accvgpr_write_b32 a194, v58                              // 000000004374: D3D940C2 1800013A
	v_perm_b32 v56, v177, v173, s52                            // 00000000437C: D1ED0038 00D35BB1
	v_perm_b32 v57, v185, v181, s53                            // 000000004384: D1ED0039 00D76BB9
	v_or_b32_e32 v58, v57, v56                                 // 00000000438C: 28747139
	v_accvgpr_write_b32 a195, v58                              // 000000004390: D3D940C3 1800013A
	s_mov_b32 s52, 0xc0c0703                                   // 000000004398: BEB400FF 0C0C0703
	s_mov_b32 s53, 0x7030c0c                                   // 0000000043A0: BEB500FF 07030C0C
	v_perm_b32 v56, v129, v125, s52                            // 0000000043A8: D1ED0038 00D2FB81
	v_perm_b32 v57, v137, v133, s53                            // 0000000043B0: D1ED0039 00D70B89
	v_or_b32_e32 v58, v57, v56                                 // 0000000043B8: 28747139
	v_accvgpr_write_b32 a200, v58                              // 0000000043BC: D3D940C8 1800013A
	v_perm_b32 v56, v145, v141, s52                            // 0000000043C4: D1ED0038 00D31B91
	v_perm_b32 v57, v153, v149, s53                            // 0000000043CC: D1ED0039 00D72B99
	v_or_b32_e32 v58, v57, v56                                 // 0000000043D4: 28747139
	v_accvgpr_write_b32 a201, v58                              // 0000000043D8: D3D940C9 1800013A
	v_perm_b32 v56, v161, v157, s52                            // 0000000043E0: D1ED0038 00D33BA1
	v_perm_b32 v57, v169, v165, s53                            // 0000000043E8: D1ED0039 00D74BA9
	v_or_b32_e32 v58, v57, v56                                 // 0000000043F0: 28747139
	v_accvgpr_write_b32 a202, v58                              // 0000000043F4: D3D940CA 1800013A
	v_perm_b32 v56, v177, v173, s52                            // 0000000043FC: D1ED0038 00D35BB1
	v_perm_b32 v57, v185, v181, s53                            // 000000004404: D1ED0039 00D76BB9
	v_or_b32_e32 v58, v57, v56                                 // 00000000440C: 28747139
	v_accvgpr_write_b32 a203, v58                              // 000000004410: D3D940CB 1800013A
	s_addk_i32 s70, 0x1                                        // 000000004418: B7460001
	s_cmp_lt_i32 s70, s71                                      // 00000000441C: BF044746
	s_cbranch_scc0 label_aligned_exit                          // 000000004420: BF840001
	s_branch label_core_loop_0                                 // 000000004424: BF82FAC9

0000000000004428 <label_aligned_exit>:
	s_nop 0                                                    // 000000004428: BF800000
	s_nop 0                                                    // 00000000442C: BF800000
	s_branch label_main_loops_exit                             // 000000004430: BF820537

0000000000004434 <label_core_loop_1>:
	s_waitcnt vmcnt(8) lgkmcnt(0)                              // 000000004434: BF8C0078
	s_barrier                                                  // 000000004438: BF8A0000
	v_mfma_f32_16x16x32_fp8_fp8 v[88:91], a[72:73], a[0:1], 0  // 00000000443C: D3F30058 1A020148
	buffer_load_dwordx4 v[124:127], v40, s[20:23], 0 offen     // 000000004444: E05C1000 80057C28
	v_mfma_f32_16x16x32_fp8_fp8 v[88:91], a[74:75], a[2:3], v[88:91]// 00000000444C: D3F30058 1D62054A
	ds_write_b64 v20, v[188:189]                               // 000000004454: D89A0000 0000BC14
	v_mfma_f32_16x16x32_fp8_fp8 v[88:91], a[76:77], a[4:5], v[88:91]// 00000000445C: D3F30058 1D62094C
	buffer_load_dword v24, v26, s[24:27], 0 offen              // 000000004464: E0501000 8006181A
	v_mfma_f32_16x16x32_fp8_fp8 v[88:91], a[78:79], a[6:7], v[88:91]// 00000000446C: D3F30058 1D620D4E
	ds_write_b64 v20, v[192:193] offset:4112                   // 000000004474: D89A1010 0000C014
	ds_write_b32 v21, v80 offset:32896                         // 00000000447C: D81A8080 00005015
	ds_write_b32 v21, v81 offset:32960                         // 000000004484: D81A80C0 00005115
	v_mfma_f32_16x16x32_fp8_fp8 v[88:91], a[80:81], a[8:9], v[88:91]// 00000000448C: D3F30058 1D621150
	buffer_load_dwordx4 v[128:131], v41, s[20:23], 0 offen     // 000000004494: E05C1000 80058029
	v_mfma_f32_16x16x32_fp8_fp8 v[88:91], a[82:83], a[10:11], v[88:91]// 00000000449C: D3F30058 1D621552
	ds_write_b64 v20, v[196:197] offset:8224                   // 0000000044A4: D89A2020 0000C414
	ds_write_b32 v21, v82 offset:33032                         // 0000000044AC: D81A8108 00005215
	ds_write_b32 v21, v83 offset:33096                         // 0000000044B4: D81A8148 00005315
	v_mfma_f32_16x16x32_fp8_fp8 v[88:91], a[84:85], a[12:13], v[88:91]// 0000000044BC: D3F30058 1D621954
	v_mfma_f32_16x16x32_fp8_fp8 v[88:91], a[86:87], a[14:15], v[88:91]// 0000000044C4: D3F30058 1D621D56
	ds_write_b64 v20, v[200:201] offset:12336                  // 0000000044CC: D89A3030 0000C814
	ds_write_b32 v21, v84 offset:33168                         // 0000000044D4: D81A8190 00005415
	ds_write_b32 v21, v85 offset:33232                         // 0000000044DC: D81A81D0 00005515
	v_mfma_f32_16x16x32_fp8_fp8 v[88:91], a[88:89], a[16:17], v[88:91]// 0000000044E4: D3F30058 1D622158
	buffer_load_dwordx4 v[132:135], v42, s[20:23], 0 offen     // 0000000044EC: E05C1000 8005842A
	v_mfma_f32_16x16x32_fp8_fp8 v[88:91], a[90:91], a[18:19], v[88:91]// 0000000044F4: D3F30058 1D62255A
	ds_write_b64 v20, v[204:205] offset:512                    // 0000000044FC: D89A0200 0000CC14
	ds_write_b32 v21, v86 offset:33304                         // 000000004504: D81A8218 00005615
	ds_write_b32 v21, v87 offset:33368                         // 00000000450C: D81A8258 00005715
	v_mfma_f32_16x16x32_fp8_fp8 v[88:91], a[92:93], a[20:21], v[88:91]// 000000004514: D3F30058 1D62295C
	v_mfma_f32_16x16x32_fp8_fp8 v[88:91], a[94:95], a[22:23], v[88:91]// 00000000451C: D3F30058 1D622D5E
	ds_write_b64 v20, v[208:209] offset:4624                   // 000000004524: D89A1210 0000D014
	v_mfma_f32_16x16x32_fp8_fp8 v[88:91], a[96:97], a[24:25], v[88:91]// 00000000452C: D3F30058 1D623160
	buffer_load_dwordx4 v[136:139], v43, s[20:23], 0 offen     // 000000004534: E05C1000 8005882B
	v_mfma_f32_16x16x32_fp8_fp8 v[88:91], a[98:99], a[26:27], v[88:91]// 00000000453C: D3F30058 1D623562
	ds_write_b64 v20, v[212:213] offset:8736                   // 000000004544: D89A2220 0000D414
	v_mfma_f32_16x16x32_fp8_fp8 v[88:91], a[100:101], a[28:29], v[88:91]// 00000000454C: D3F30058 1D623964
	buffer_load_dword v72, v36, s[20:23], 0 offen              // 000000004554: E0501000 80054824
	buffer_load_dword v73, v36, s[20:23], 0 offen offset:32    // 00000000455C: E0501020 80054924
	v_mfma_f32_16x16x32_fp8_fp8 v[88:91], a[102:103], a[30:31], v[88:91]// 000000004564: D3F30058 1D623D66
	ds_write_b64 v20, v[216:217] offset:12848                  // 00000000456C: D89A3230 0000D814
	v_mfma_f32_16x16x32_fp8_fp8 v[88:91], a[104:105], a[32:33], v[88:91]// 000000004574: D3F30058 1D624168
	buffer_load_dwordx4 v[140:143], v44, s[20:23], 0 offen     // 00000000457C: E05C1000 80058C2C
	buffer_load_dword v74, v37, s[20:23], 0 offen              // 000000004584: E0501000 80054A25
	buffer_load_dword v75, v37, s[20:23], 0 offen offset:32    // 00000000458C: E0501020 80054B25
	v_mfma_f32_16x16x32_fp8_fp8 v[88:91], a[106:107], a[34:35], v[88:91]// 000000004594: D3F30058 1D62456A
	s_waitcnt lgkmcnt(0)                                       // 00000000459C: BF8CC07F
	s_barrier                                                  // 0000000045A0: BF8A0000
	v_add_u32_e32 v26, s73, v26                                // 0000000045A4: 68343449
	buffer_load_dword v76, v38, s[20:23], 0 offen              // 0000000045A8: E0501000 80054C26
	buffer_load_dword v77, v38, s[20:23], 0 offen offset:32    // 0000000045B0: E0501020 80054D26
	s_nop 8                                                    // 0000000045B8: BF800008
	v_mov_b32_e32 v8, v88                                      // 0000000045BC: 7E100358
	v_max3_f32 v8, v88, v89, v8                                // 0000000045C0: D1D30008 0422B358
	v_max3_f32 v8, v90, v91, v8                                // 0000000045C8: D1D30008 0422B75A
	ds_write_b32 v5, v8 offset:41600                           // 0000000045D0: D81AA280 00000805
	buffer_load_dword v78, v39, s[20:23], 0 offen              // 0000000045D8: E0501000 80054E27
	buffer_load_dword v79, v39, s[20:23], 0 offen offset:32    // 0000000045E0: E0501020 80054F27
	s_waitcnt lgkmcnt(0)                                       // 0000000045E8: BF8CC07F
	s_barrier                                                  // 0000000045EC: BF8A0000
	ds_read_b32 v56, v4 offset:41600                           // 0000000045F0: D86CA280 38000004
	buffer_load_dwordx4 v[144:147], v45, s[20:23], 0 offen     // 0000000045F8: E05C1000 8005902D
	ds_read_b32 v57, v4 offset:41664                           // 000000004600: D86CA2C0 39000004
	ds_read_b32 v58, v4 offset:41728                           // 000000004608: D86CA300 3A000004
	ds_read_b32 v59, v4 offset:41792                           // 000000004610: D86CA340 3B000004
	ds_read_b32 v60, v4 offset:41856                           // 000000004618: D86CA380 3C000004
	ds_read_b32 v61, v4 offset:41920                           // 000000004620: D86CA3C0 3D000004
	ds_read_b32 v62, v4 offset:41984                           // 000000004628: D86CA400 3E000004
	ds_read_b32 v63, v4 offset:42048                           // 000000004630: D86CA440 3F000004
	ds_read_b32 v64, v4 offset:42112                           // 000000004638: D86CA480 40000004
	buffer_load_dwordx4 v[148:151], v46, s[20:23], 0 offen     // 000000004640: E05C1000 8005942E
	ds_read_b32 v65, v4 offset:42176                           // 000000004648: D86CA4C0 41000004
	ds_read_b32 v66, v4 offset:42240                           // 000000004650: D86CA500 42000004
	ds_read_b32 v67, v4 offset:42304                           // 000000004658: D86CA540 43000004
	ds_read_b32 v68, v4 offset:42368                           // 000000004660: D86CA580 44000004
	ds_read_b32 v69, v4 offset:42432                           // 000000004668: D86CA5C0 45000004
	ds_read_b32 v70, v4 offset:42496                           // 000000004670: D86CA600 46000004
	ds_read_b32 v71, v4 offset:42560                           // 000000004678: D86CA640 47000004
	buffer_load_dwordx4 v[152:155], v47, s[20:23], 0 offen     // 000000004680: E05C1000 8005982F
	s_waitcnt lgkmcnt(0)                                       // 000000004688: BF8CC07F
	v_max3_f32 v8, v56, v57, v8                                // 00000000468C: D1D30008 04227338
	v_max3_f32 v8, v58, v59, v8                                // 000000004694: D1D30008 0422773A
	v_max3_f32 v8, v60, v61, v8                                // 00000000469C: D1D30008 04227B3C
	v_max3_f32 v8, v62, v63, v8                                // 0000000046A4: D1D30008 04227F3E
	v_max3_f32 v8, v64, v65, v8                                // 0000000046AC: D1D30008 04228340
	v_max3_f32 v8, v66, v67, v8                                // 0000000046B4: D1D30008 04228742
	v_max3_f32 v8, v68, v69, v8                                // 0000000046BC: D1D30008 04228B44
	v_max3_f32 v8, v70, v71, v8                                // 0000000046C4: D1D30008 04228F46
	buffer_load_dwordx4 v[156:159], v48, s[20:23], 0 offen     // 0000000046CC: E05C1000 80059C30
	v_cmp_eq_u32_e64 s[32:33], v11, v12                        // 0000000046D4: D0CA0020 0002190B
	v_max_f32_e32 v13, v8, v12                                 // 0000000046DC: 161A1908
	v_sub_f32_e32 v18, v12, v13                                // 0000000046E0: 04241B0C
	v_cndmask_b32_e64 v18, v18, 0, s[32:33]                    // 0000000046E4: D1000012 00810112
	v_mov_b32_e32 v12, v13                                     // 0000000046EC: 7E18030D
	v_mul_f32_e32 v9, s5, v13                                  // 0000000046F0: 0A121A05
	v_mul_f32_e32 v18, s5, v18                                 // 0000000046F4: 0A242405
	v_exp_f32_e32 v18, v18                                     // 0000000046F8: 7E244112
	buffer_load_dwordx4 v[160:163], v49, s[20:23], 0 offen     // 0000000046FC: E05C1000 8005A031
	v_fma_f32 v88, v88, s5, -v9                                // 000000004704: D1CB0058 84240B58
	v_fma_f32 v89, v89, s5, -v9                                // 00000000470C: D1CB0059 84240B59
	v_fma_f32 v90, v90, s5, -v9                                // 000000004714: D1CB005A 84240B5A
	v_fma_f32 v91, v91, s5, -v9                                // 00000000471C: D1CB005B 84240B5B
	v_exp_f32_e32 v88, v88                                     // 000000004724: 7EB04158
	v_exp_f32_e32 v89, v89                                     // 000000004728: 7EB24159
	v_exp_f32_e32 v90, v90                                     // 00000000472C: 7EB4415A
	v_exp_f32_e32 v91, v91                                     // 000000004730: 7EB6415B
	buffer_load_dwordx4 v[164:167], v50, s[20:23], 0 offen     // 000000004734: E05C1000 8005A432
	v_mul_f32_e32 v14, v18, v14                                // 00000000473C: 0A1C1D12
	v_mov_b32_e32 v15, v88                                     // 000000004740: 7E1E0358
	v_add_f32_e32 v15, v89, v15                                // 000000004744: 021E1F59
	v_add_f32_e32 v15, v90, v15                                // 000000004748: 021E1F5A
	v_add_f32_e32 v15, v91, v15                                // 00000000474C: 021E1F5B
	v_add_f32_e32 v14, v15, v14                                // 000000004750: 021C1D0F
	buffer_load_dwordx4 v[168:171], v51, s[20:23], 0 offen     // 000000004754: E05C1000 8005A833
	v_cvt_pk_fp8_f32 v88, v88, v89                             // 00000000475C: D2A20058 0002B358
	s_nop 1                                                    // 000000004764: BF800001
	v_cvt_pk_fp8_f32 v88, v90, v91 op_sel:[0,0,1]              // 000000004768: D2A24058 0002B75A
	ds_write_b32 v7, v88 offset:42624                          // 000000004770: D81AA680 00005807
	buffer_load_dwordx4 v[172:175], v52, s[20:23], 0 offen     // 000000004778: E05C1000 8005AC34
	buffer_load_dwordx4 v[176:179], v53, s[20:23], 0 offen     // 000000004780: E05C1000 8005B035
	buffer_load_dwordx4 v[180:183], v54, s[20:23], 0 offen     // 000000004788: E05C1000 8005B436
	buffer_load_dwordx4 v[184:187], v55, s[20:23], 0 offen     // 000000004790: E05C1000 8005B837
	s_waitcnt lgkmcnt(0)                                       // 000000004798: BF8CC07F
	s_barrier                                                  // 00000000479C: BF8A0000
	ds_read_b32 v88, v6 offset:42624                           // 0000000047A0: D86CA680 58000006
	ds_read_b32 v89, v6 offset:42688                           // 0000000047A8: D86CA6C0 59000006
	ds_read_b32 v90, v6 offset:43136                           // 0000000047B0: D86CA880 5A000006
	ds_read_b32 v91, v6 offset:43200                           // 0000000047B8: D86CA8C0 5B000006
	v_mul_u32_u24_dpp v40, v25, v10 row_newbcast:0 row_mask:0xf bank_mask:0xf// 0000000047C0: 105014FA FF015019
	v_mul_u32_u24_dpp v41, v25, v10 row_newbcast:1 row_mask:0xf bank_mask:0xf// 0000000047C8: 105214FA FF015119
	v_mul_u32_u24_dpp v42, v25, v10 row_newbcast:2 row_mask:0xf bank_mask:0xf// 0000000047D0: 105414FA FF015219
	v_mul_u32_u24_dpp v43, v25, v10 row_newbcast:3 row_mask:0xf bank_mask:0xf// 0000000047D8: 105614FA FF015319
	v_mul_u32_u24_dpp v44, v25, v10 row_newbcast:4 row_mask:0xf bank_mask:0xf// 0000000047E0: 105814FA FF015419
	v_mul_u32_u24_dpp v45, v25, v10 row_newbcast:5 row_mask:0xf bank_mask:0xf// 0000000047E8: 105A14FA FF015519
	v_mul_u32_u24_dpp v46, v25, v10 row_newbcast:6 row_mask:0xf bank_mask:0xf// 0000000047F0: 105C14FA FF015619
	v_mul_u32_u24_dpp v47, v25, v10 row_newbcast:7 row_mask:0xf bank_mask:0xf// 0000000047F8: 105E14FA FF015719
	v_mul_u32_u24_dpp v48, v25, v10 row_newbcast:8 row_mask:0xf bank_mask:0xf// 000000004800: 106014FA FF015819
	v_mul_u32_u24_dpp v49, v25, v10 row_newbcast:9 row_mask:0xf bank_mask:0xf// 000000004808: 106214FA FF015919
	v_mul_u32_u24_dpp v50, v25, v10 row_newbcast:10 row_mask:0xf bank_mask:0xf// 000000004810: 106414FA FF015A19
	v_mul_u32_u24_dpp v51, v25, v10 row_newbcast:11 row_mask:0xf bank_mask:0xf// 000000004818: 106614FA FF015B19
	v_mul_u32_u24_dpp v52, v25, v10 row_newbcast:12 row_mask:0xf bank_mask:0xf// 000000004820: 106814FA FF015C19
	v_mul_u32_u24_dpp v53, v25, v10 row_newbcast:13 row_mask:0xf bank_mask:0xf// 000000004828: 106A14FA FF015D19
	v_mul_u32_u24_dpp v54, v25, v10 row_newbcast:14 row_mask:0xf bank_mask:0xf// 000000004830: 106C14FA FF015E19
	v_mul_u32_u24_dpp v55, v25, v10 row_newbcast:15 row_mask:0xf bank_mask:0xf// 000000004838: 106E14FA FF015F19
	s_mov_b32 s56, m0                                          // 000000004840: BEB8007C
	s_set_gpr_idx_on s51, gpr_idx(SRC0)                        // 000000004844: BF110133
	v_add_u32_e32 v36, v40, v3                                 // 000000004848: 68480728
	v_add_u32_e32 v37, v41, v3                                 // 00000000484C: 684A0729
	v_add_u32_e32 v38, v42, v3                                 // 000000004850: 684C072A
	v_add_u32_e32 v39, v43, v3                                 // 000000004854: 684E072B
	s_set_gpr_idx_off                                          // 000000004858: BF9C0000
	s_mov_b32 m0, s56                                          // 00000000485C: BEFC0038
	v_add_u32_e32 v40, v40, v2                                 // 000000004860: 68500528
	v_add_u32_e32 v41, v41, v2                                 // 000000004864: 68520529
	v_add_u32_e32 v42, v42, v2                                 // 000000004868: 6854052A
	v_add_u32_e32 v43, v43, v2                                 // 00000000486C: 6856052B
	v_add_u32_e32 v44, v44, v2                                 // 000000004870: 6858052C
	v_add_u32_e32 v45, v45, v2                                 // 000000004874: 685A052D
	v_add_u32_e32 v46, v46, v2                                 // 000000004878: 685C052E
	v_add_u32_e32 v47, v47, v2                                 // 00000000487C: 685E052F
	v_add_u32_e32 v48, v48, v2                                 // 000000004880: 68600530
	v_add_u32_e32 v49, v49, v2                                 // 000000004884: 68620531
	;; [unrolled: 1-line block ×3, first 2 shown]
	v_add_u32_e32 v51, v51, v2                                 // 00000000488C: 68660533
	v_add_u32_e32 v52, v52, v2                                 // 000000004890: 68680534
	v_add_u32_e32 v53, v53, v2                                 // 000000004894: 686A0535
	v_add_u32_e32 v54, v54, v2                                 // 000000004898: 686C0536
	v_add_u32_e32 v55, v55, v2                                 // 00000000489C: 686E0537
	s_waitcnt lgkmcnt(0)                                       // 0000000048A0: BF8CC07F
	v_mul_f32_e32 v92, v18, v92                                // 0000000048A4: 0AB8B912
	v_mul_f32_e32 v93, v18, v93                                // 0000000048A8: 0ABABB12
	v_mul_f32_e32 v94, v18, v94                                // 0000000048AC: 0ABCBD12
	v_mul_f32_e32 v95, v18, v95                                // 0000000048B0: 0ABEBF12
	v_mul_f32_e32 v96, v18, v96                                // 0000000048B4: 0AC0C112
	v_mul_f32_e32 v97, v18, v97                                // 0000000048B8: 0AC2C312
	v_mul_f32_e32 v98, v18, v98                                // 0000000048BC: 0AC4C512
	v_mul_f32_e32 v99, v18, v99                                // 0000000048C0: 0AC6C712
	v_mul_f32_e32 v100, v18, v100                              // 0000000048C4: 0AC8C912
	v_mul_f32_e32 v101, v18, v101                              // 0000000048C8: 0ACACB12
	v_mul_f32_e32 v102, v18, v102                              // 0000000048CC: 0ACCCD12
	v_mul_f32_e32 v103, v18, v103                              // 0000000048D0: 0ACECF12
	v_mul_f32_e32 v104, v18, v104                              // 0000000048D4: 0AD0D112
	v_mul_f32_e32 v105, v18, v105                              // 0000000048D8: 0AD2D312
	v_mul_f32_e32 v106, v18, v106                              // 0000000048DC: 0AD4D512
	v_mul_f32_e32 v107, v18, v107                              // 0000000048E0: 0AD6D712
	v_mul_f32_e32 v108, v18, v108                              // 0000000048E4: 0AD8D912
	v_mul_f32_e32 v109, v18, v109                              // 0000000048E8: 0ADADB12
	v_mul_f32_e32 v110, v18, v110                              // 0000000048EC: 0ADCDD12
	v_mul_f32_e32 v111, v18, v111                              // 0000000048F0: 0ADEDF12
	v_mul_f32_e32 v112, v18, v112                              // 0000000048F4: 0AE0E112
	v_mul_f32_e32 v113, v18, v113                              // 0000000048F8: 0AE2E312
	v_mul_f32_e32 v114, v18, v114                              // 0000000048FC: 0AE4E512
	v_mul_f32_e32 v115, v18, v115                              // 000000004900: 0AE6E712
	v_mul_f32_e32 v116, v18, v116                              // 000000004904: 0AE8E912
	v_mul_f32_e32 v117, v18, v117                              // 000000004908: 0AEAEB12
	v_mul_f32_e32 v118, v18, v118                              // 00000000490C: 0AECED12
	v_mul_f32_e32 v119, v18, v119                              // 000000004910: 0AEEEF12
	v_mul_f32_e32 v120, v18, v120                              // 000000004914: 0AF0F112
	v_mul_f32_e32 v121, v18, v121                              // 000000004918: 0AF2F312
	v_mul_f32_e32 v122, v18, v122                              // 00000000491C: 0AF4F512
	v_mul_f32_e32 v123, v18, v123                              // 000000004920: 0AF6F712
	s_waitcnt vmcnt(25)                                        // 000000004924: BF8C4F79
	v_mfma_f32_16x16x32_fp8_fp8 v[92:95], a[144:145], v[88:89], v[92:95]// 000000004928: D3F3005C 0D72B190
	ds_write_b64 v20, v[220:221]                               // 000000004930: D89A0000 0000DC14
	v_mfma_f32_16x16x32_fp8_fp8 v[92:95], a[146:147], v[90:91], v[92:95]// 000000004938: D3F3005C 0D72B592
	v_mfma_f32_16x16x32_fp8_fp8 v[96:99], a[152:153], v[88:89], v[96:99]// 000000004940: D3F30060 0D82B198
	ds_write_b64 v20, v[224:225] offset:4112                   // 000000004948: D89A1010 0000E014
	v_mfma_f32_16x16x32_fp8_fp8 v[96:99], a[154:155], v[90:91], v[96:99]// 000000004950: D3F30060 0D82B59A
	v_mfma_f32_16x16x32_fp8_fp8 v[100:103], a[160:161], v[88:89], v[100:103]// 000000004958: D3F30064 0D92B1A0
	ds_write_b64 v20, v[228:229] offset:8224                   // 000000004960: D89A2020 0000E414
	v_mfma_f32_16x16x32_fp8_fp8 v[100:103], a[162:163], v[90:91], v[100:103]// 000000004968: D3F30064 0D92B5A2
	v_mfma_f32_16x16x32_fp8_fp8 v[104:107], a[168:169], v[88:89], v[104:107]// 000000004970: D3F30068 0DA2B1A8
	ds_write_b64 v20, v[232:233] offset:12336                  // 000000004978: D89A3030 0000E814
	v_mfma_f32_16x16x32_fp8_fp8 v[104:107], a[170:171], v[90:91], v[104:107]// 000000004980: D3F30068 0DA2B5AA
	v_mfma_f32_16x16x32_fp8_fp8 v[108:111], a[176:177], v[88:89], v[108:111]// 000000004988: D3F3006C 0DB2B1B0
	ds_write_b64 v20, v[236:237] offset:512                    // 000000004990: D89A0200 0000EC14
	v_mfma_f32_16x16x32_fp8_fp8 v[108:111], a[178:179], v[90:91], v[108:111]// 000000004998: D3F3006C 0DB2B5B2
	v_mfma_f32_16x16x32_fp8_fp8 v[112:115], a[184:185], v[88:89], v[112:115]// 0000000049A0: D3F30070 0DC2B1B8
	ds_write_b64 v20, v[240:241] offset:4624                   // 0000000049A8: D89A1210 0000F014
	v_mfma_f32_16x16x32_fp8_fp8 v[112:115], a[186:187], v[90:91], v[112:115]// 0000000049B0: D3F30070 0DC2B5BA
	v_mfma_f32_16x16x32_fp8_fp8 v[116:119], a[192:193], v[88:89], v[116:119]// 0000000049B8: D3F30074 0DD2B1C0
	ds_write_b64 v20, v[244:245] offset:8736                   // 0000000049C0: D89A2220 0000F414
	v_mfma_f32_16x16x32_fp8_fp8 v[116:119], a[194:195], v[90:91], v[116:119]// 0000000049C8: D3F30074 0DD2B5C2
	v_mfma_f32_16x16x32_fp8_fp8 v[120:123], a[200:201], v[88:89], v[120:123]// 0000000049D0: D3F30078 0DE2B1C8
	ds_write_b64 v20, v[248:249] offset:12848                  // 0000000049D8: D89A3230 0000F814
	v_mfma_f32_16x16x32_fp8_fp8 v[120:123], a[202:203], v[90:91], v[120:123]// 0000000049E0: D3F30078 0DE2B5CA
	s_waitcnt lgkmcnt(0)                                       // 0000000049E8: BF8CC07F
	s_barrier                                                  // 0000000049EC: BF8A0000
	ds_read_b64 a[72:73], v22                                  // 0000000049F0: DAEC0000 48000016
	ds_read_b64 a[74:75], v22 offset:32                        // 0000000049F8: DAEC0020 4A000016
	ds_read_b64 a[76:77], v22 offset:64                        // 000000004A00: DAEC0040 4C000016
	ds_read_b64 a[78:79], v22 offset:96                        // 000000004A08: DAEC0060 4E000016
	ds_read_b64 a[80:81], v22 offset:128                       // 000000004A10: DAEC0080 50000016
	ds_read_b64 a[82:83], v22 offset:160                       // 000000004A18: DAEC00A0 52000016
	ds_read_b64 a[84:85], v22 offset:192                       // 000000004A20: DAEC00C0 54000016
	ds_read_b64 a[86:87], v22 offset:224                       // 000000004A28: DAEC00E0 56000016
	ds_read_b64 a[88:89], v22 offset:256                       // 000000004A30: DAEC0100 58000016
	ds_read_b64 a[90:91], v22 offset:288                       // 000000004A38: DAEC0120 5A000016
	ds_read_b64 a[92:93], v22 offset:320                       // 000000004A40: DAEC0140 5C000016
	ds_read_b64 a[94:95], v22 offset:352                       // 000000004A48: DAEC0160 5E000016
	ds_read_b64 a[96:97], v22 offset:384                       // 000000004A50: DAEC0180 60000016
	ds_read_b64 a[98:99], v22 offset:416                       // 000000004A58: DAEC01A0 62000016
	ds_read_b64 a[100:101], v22 offset:448                     // 000000004A60: DAEC01C0 64000016
	ds_read_b64 a[102:103], v22 offset:480                     // 000000004A68: DAEC01E0 66000016
	ds_read_b64 a[104:105], v23 offset:32896                   // 000000004A70: DAEC8080 68000017
	ds_read_b64 a[106:107], v23 offset:32928                   // 000000004A78: DAEC80A0 6A000017
	ds_read_b64 a[108:109], v23 offset:32960                   // 000000004A80: DAEC80C0 6C000017
	ds_read_b64 a[110:111], v23 offset:32992                   // 000000004A88: DAEC80E0 6E000017
	s_waitcnt lgkmcnt(0)                                       // 000000004A90: BF8CC07F
	s_mov_b32 s52, 0xc0c0400                                   // 000000004A94: BEB400FF 0C0C0400
	s_mov_b32 s53, 0x4000c0c                                   // 000000004A9C: BEB500FF 04000C0C
	v_perm_b32 v56, v192, v188, s52                            // 000000004AA4: D1ED0038 00D379C0
	v_perm_b32 v57, v200, v196, s53                            // 000000004AAC: D1ED0039 00D789C8
	v_or_b32_e32 v58, v57, v56                                 // 000000004AB4: 28747139
	v_accvgpr_write_b32 a144, v58                              // 000000004AB8: D3D94090 1800013A
	v_perm_b32 v56, v208, v204, s52                            // 000000004AC0: D1ED0038 00D399D0
	v_perm_b32 v57, v216, v212, s53                            // 000000004AC8: D1ED0039 00D7A9D8
	v_or_b32_e32 v58, v57, v56                                 // 000000004AD0: 28747139
	v_accvgpr_write_b32 a145, v58                              // 000000004AD4: D3D94091 1800013A
	v_perm_b32 v56, v224, v220, s52                            // 000000004ADC: D1ED0038 00D3B9E0
	v_perm_b32 v57, v232, v228, s53                            // 000000004AE4: D1ED0039 00D7C9E8
	v_or_b32_e32 v58, v57, v56                                 // 000000004AEC: 28747139
	v_accvgpr_write_b32 a146, v58                              // 000000004AF0: D3D94092 1800013A
	v_perm_b32 v56, v240, v236, s52                            // 000000004AF8: D1ED0038 00D3D9F0
	v_perm_b32 v57, v248, v244, s53                            // 000000004B00: D1ED0039 00D7E9F8
	v_or_b32_e32 v58, v57, v56                                 // 000000004B08: 28747139
	v_accvgpr_write_b32 a147, v58                              // 000000004B0C: D3D94093 1800013A
	s_mov_b32 s52, 0xc0c0501                                   // 000000004B14: BEB400FF 0C0C0501
	s_mov_b32 s53, 0x5010c0c                                   // 000000004B1C: BEB500FF 05010C0C
	v_perm_b32 v56, v192, v188, s52                            // 000000004B24: D1ED0038 00D379C0
	v_perm_b32 v57, v200, v196, s53                            // 000000004B2C: D1ED0039 00D789C8
	v_or_b32_e32 v58, v57, v56                                 // 000000004B34: 28747139
	v_accvgpr_write_b32 a152, v58                              // 000000004B38: D3D94098 1800013A
	v_perm_b32 v56, v208, v204, s52                            // 000000004B40: D1ED0038 00D399D0
	v_perm_b32 v57, v216, v212, s53                            // 000000004B48: D1ED0039 00D7A9D8
	v_or_b32_e32 v58, v57, v56                                 // 000000004B50: 28747139
	v_accvgpr_write_b32 a153, v58                              // 000000004B54: D3D94099 1800013A
	v_perm_b32 v56, v224, v220, s52                            // 000000004B5C: D1ED0038 00D3B9E0
	v_perm_b32 v57, v232, v228, s53                            // 000000004B64: D1ED0039 00D7C9E8
	v_or_b32_e32 v58, v57, v56                                 // 000000004B6C: 28747139
	v_accvgpr_write_b32 a154, v58                              // 000000004B70: D3D9409A 1800013A
	v_perm_b32 v56, v240, v236, s52                            // 000000004B78: D1ED0038 00D3D9F0
	v_perm_b32 v57, v248, v244, s53                            // 000000004B80: D1ED0039 00D7E9F8
	v_or_b32_e32 v58, v57, v56                                 // 000000004B88: 28747139
	v_accvgpr_write_b32 a155, v58                              // 000000004B8C: D3D9409B 1800013A
	s_mov_b32 s52, 0xc0c0602                                   // 000000004B94: BEB400FF 0C0C0602
	s_mov_b32 s53, 0x6020c0c                                   // 000000004B9C: BEB500FF 06020C0C
	v_perm_b32 v56, v192, v188, s52                            // 000000004BA4: D1ED0038 00D379C0
	v_perm_b32 v57, v200, v196, s53                            // 000000004BAC: D1ED0039 00D789C8
	v_or_b32_e32 v58, v57, v56                                 // 000000004BB4: 28747139
	v_accvgpr_write_b32 a160, v58                              // 000000004BB8: D3D940A0 1800013A
	v_perm_b32 v56, v208, v204, s52                            // 000000004BC0: D1ED0038 00D399D0
	v_perm_b32 v57, v216, v212, s53                            // 000000004BC8: D1ED0039 00D7A9D8
	v_or_b32_e32 v58, v57, v56                                 // 000000004BD0: 28747139
	v_accvgpr_write_b32 a161, v58                              // 000000004BD4: D3D940A1 1800013A
	v_perm_b32 v56, v224, v220, s52                            // 000000004BDC: D1ED0038 00D3B9E0
	v_perm_b32 v57, v232, v228, s53                            // 000000004BE4: D1ED0039 00D7C9E8
	v_or_b32_e32 v58, v57, v56                                 // 000000004BEC: 28747139
	v_accvgpr_write_b32 a162, v58                              // 000000004BF0: D3D940A2 1800013A
	v_perm_b32 v56, v240, v236, s52                            // 000000004BF8: D1ED0038 00D3D9F0
	v_perm_b32 v57, v248, v244, s53                            // 000000004C00: D1ED0039 00D7E9F8
	v_or_b32_e32 v58, v57, v56                                 // 000000004C08: 28747139
	v_accvgpr_write_b32 a163, v58                              // 000000004C0C: D3D940A3 1800013A
	s_mov_b32 s52, 0xc0c0703                                   // 000000004C14: BEB400FF 0C0C0703
	s_mov_b32 s53, 0x7030c0c                                   // 000000004C1C: BEB500FF 07030C0C
	v_perm_b32 v56, v192, v188, s52                            // 000000004C24: D1ED0038 00D379C0
	v_perm_b32 v57, v200, v196, s53                            // 000000004C2C: D1ED0039 00D789C8
	v_or_b32_e32 v58, v57, v56                                 // 000000004C34: 28747139
	v_accvgpr_write_b32 a168, v58                              // 000000004C38: D3D940A8 1800013A
	v_perm_b32 v56, v208, v204, s52                            // 000000004C40: D1ED0038 00D399D0
	v_perm_b32 v57, v216, v212, s53                            // 000000004C48: D1ED0039 00D7A9D8
	v_or_b32_e32 v58, v57, v56                                 // 000000004C50: 28747139
	v_accvgpr_write_b32 a169, v58                              // 000000004C54: D3D940A9 1800013A
	v_perm_b32 v56, v224, v220, s52                            // 000000004C5C: D1ED0038 00D3B9E0
	v_perm_b32 v57, v232, v228, s53                            // 000000004C64: D1ED0039 00D7C9E8
	v_or_b32_e32 v58, v57, v56                                 // 000000004C6C: 28747139
	v_accvgpr_write_b32 a170, v58                              // 000000004C70: D3D940AA 1800013A
	v_perm_b32 v56, v240, v236, s52                            // 000000004C78: D1ED0038 00D3D9F0
	v_perm_b32 v57, v248, v244, s53                            // 000000004C80: D1ED0039 00D7E9F8
	v_or_b32_e32 v58, v57, v56                                 // 000000004C88: 28747139
	v_accvgpr_write_b32 a171, v58                              // 000000004C8C: D3D940AB 1800013A
	s_mov_b32 s52, 0xc0c0400                                   // 000000004C94: BEB400FF 0C0C0400
	s_mov_b32 s53, 0x4000c0c                                   // 000000004C9C: BEB500FF 04000C0C
	v_perm_b32 v56, v193, v189, s52                            // 000000004CA4: D1ED0038 00D37BC1
	v_perm_b32 v57, v201, v197, s53                            // 000000004CAC: D1ED0039 00D78BC9
	v_or_b32_e32 v58, v57, v56                                 // 000000004CB4: 28747139
	v_accvgpr_write_b32 a176, v58                              // 000000004CB8: D3D940B0 1800013A
	v_perm_b32 v56, v209, v205, s52                            // 000000004CC0: D1ED0038 00D39BD1
	v_perm_b32 v57, v217, v213, s53                            // 000000004CC8: D1ED0039 00D7ABD9
	v_or_b32_e32 v58, v57, v56                                 // 000000004CD0: 28747139
	v_accvgpr_write_b32 a177, v58                              // 000000004CD4: D3D940B1 1800013A
	v_perm_b32 v56, v225, v221, s52                            // 000000004CDC: D1ED0038 00D3BBE1
	v_perm_b32 v57, v233, v229, s53                            // 000000004CE4: D1ED0039 00D7CBE9
	v_or_b32_e32 v58, v57, v56                                 // 000000004CEC: 28747139
	v_accvgpr_write_b32 a178, v58                              // 000000004CF0: D3D940B2 1800013A
	v_perm_b32 v56, v241, v237, s52                            // 000000004CF8: D1ED0038 00D3DBF1
	v_perm_b32 v57, v249, v245, s53                            // 000000004D00: D1ED0039 00D7EBF9
	v_or_b32_e32 v58, v57, v56                                 // 000000004D08: 28747139
	v_accvgpr_write_b32 a179, v58                              // 000000004D0C: D3D940B3 1800013A
	s_mov_b32 s52, 0xc0c0501                                   // 000000004D14: BEB400FF 0C0C0501
	s_mov_b32 s53, 0x5010c0c                                   // 000000004D1C: BEB500FF 05010C0C
	v_perm_b32 v56, v193, v189, s52                            // 000000004D24: D1ED0038 00D37BC1
	v_perm_b32 v57, v201, v197, s53                            // 000000004D2C: D1ED0039 00D78BC9
	v_or_b32_e32 v58, v57, v56                                 // 000000004D34: 28747139
	v_accvgpr_write_b32 a184, v58                              // 000000004D38: D3D940B8 1800013A
	v_perm_b32 v56, v209, v205, s52                            // 000000004D40: D1ED0038 00D39BD1
	v_perm_b32 v57, v217, v213, s53                            // 000000004D48: D1ED0039 00D7ABD9
	v_or_b32_e32 v58, v57, v56                                 // 000000004D50: 28747139
	v_accvgpr_write_b32 a185, v58                              // 000000004D54: D3D940B9 1800013A
	v_perm_b32 v56, v225, v221, s52                            // 000000004D5C: D1ED0038 00D3BBE1
	v_perm_b32 v57, v233, v229, s53                            // 000000004D64: D1ED0039 00D7CBE9
	v_or_b32_e32 v58, v57, v56                                 // 000000004D6C: 28747139
	v_accvgpr_write_b32 a186, v58                              // 000000004D70: D3D940BA 1800013A
	v_perm_b32 v56, v241, v237, s52                            // 000000004D78: D1ED0038 00D3DBF1
	v_perm_b32 v57, v249, v245, s53                            // 000000004D80: D1ED0039 00D7EBF9
	v_or_b32_e32 v58, v57, v56                                 // 000000004D88: 28747139
	v_accvgpr_write_b32 a187, v58                              // 000000004D8C: D3D940BB 1800013A
	s_mov_b32 s52, 0xc0c0602                                   // 000000004D94: BEB400FF 0C0C0602
	s_mov_b32 s53, 0x6020c0c                                   // 000000004D9C: BEB500FF 06020C0C
	v_perm_b32 v56, v193, v189, s52                            // 000000004DA4: D1ED0038 00D37BC1
	v_perm_b32 v57, v201, v197, s53                            // 000000004DAC: D1ED0039 00D78BC9
	v_or_b32_e32 v58, v57, v56                                 // 000000004DB4: 28747139
	v_accvgpr_write_b32 a192, v58                              // 000000004DB8: D3D940C0 1800013A
	v_perm_b32 v56, v209, v205, s52                            // 000000004DC0: D1ED0038 00D39BD1
	v_perm_b32 v57, v217, v213, s53                            // 000000004DC8: D1ED0039 00D7ABD9
	v_or_b32_e32 v58, v57, v56                                 // 000000004DD0: 28747139
	v_accvgpr_write_b32 a193, v58                              // 000000004DD4: D3D940C1 1800013A
	v_perm_b32 v56, v225, v221, s52                            // 000000004DDC: D1ED0038 00D3BBE1
	v_perm_b32 v57, v233, v229, s53                            // 000000004DE4: D1ED0039 00D7CBE9
	v_or_b32_e32 v58, v57, v56                                 // 000000004DEC: 28747139
	v_accvgpr_write_b32 a194, v58                              // 000000004DF0: D3D940C2 1800013A
	v_perm_b32 v56, v241, v237, s52                            // 000000004DF8: D1ED0038 00D3DBF1
	v_perm_b32 v57, v249, v245, s53                            // 000000004E00: D1ED0039 00D7EBF9
	v_or_b32_e32 v58, v57, v56                                 // 000000004E08: 28747139
	v_accvgpr_write_b32 a195, v58                              // 000000004E0C: D3D940C3 1800013A
	s_mov_b32 s52, 0xc0c0703                                   // 000000004E14: BEB400FF 0C0C0703
	s_mov_b32 s53, 0x7030c0c                                   // 000000004E1C: BEB500FF 07030C0C
	v_perm_b32 v56, v193, v189, s52                            // 000000004E24: D1ED0038 00D37BC1
	v_perm_b32 v57, v201, v197, s53                            // 000000004E2C: D1ED0039 00D78BC9
	v_or_b32_e32 v58, v57, v56                                 // 000000004E34: 28747139
	v_accvgpr_write_b32 a200, v58                              // 000000004E38: D3D940C8 1800013A
	v_perm_b32 v56, v209, v205, s52                            // 000000004E40: D1ED0038 00D39BD1
	v_perm_b32 v57, v217, v213, s53                            // 000000004E48: D1ED0039 00D7ABD9
	v_or_b32_e32 v58, v57, v56                                 // 000000004E50: 28747139
	v_accvgpr_write_b32 a201, v58                              // 000000004E54: D3D940C9 1800013A
	v_perm_b32 v56, v225, v221, s52                            // 000000004E5C: D1ED0038 00D3BBE1
	v_perm_b32 v57, v233, v229, s53                            // 000000004E64: D1ED0039 00D7CBE9
	v_or_b32_e32 v58, v57, v56                                 // 000000004E6C: 28747139
	v_accvgpr_write_b32 a202, v58                              // 000000004E70: D3D940CA 1800013A
	v_perm_b32 v56, v241, v237, s52                            // 000000004E78: D1ED0038 00D3DBF1
	v_perm_b32 v57, v249, v245, s53                            // 000000004E80: D1ED0039 00D7EBF9
	v_or_b32_e32 v58, v57, v56                                 // 000000004E88: 28747139
	v_accvgpr_write_b32 a203, v58                              // 000000004E8C: D3D940CB 1800013A
	s_addk_i32 s70, 0x1                                        // 000000004E94: B7460001
	s_cmp_lt_i32 s70, s71                                      // 000000004E98: BF044746
	s_cbranch_scc0 label_aligned_exit                          // 000000004E9C: BF84FD62
	s_waitcnt vmcnt(8) lgkmcnt(0)                              // 000000004EA0: BF8C0078
	s_barrier                                                  // 000000004EA4: BF8A0000
	v_mfma_f32_16x16x32_fp8_fp8 v[88:91], a[72:73], a[0:1], 0  // 000000004EA8: D3F30058 1A020148
	buffer_load_dwordx4 v[188:191], v40, s[20:23], 0 offen     // 000000004EB0: E05C1000 8005BC28
	v_mfma_f32_16x16x32_fp8_fp8 v[88:91], a[74:75], a[2:3], v[88:91]// 000000004EB8: D3F30058 1D62054A
	ds_write_b64 v20, v[124:125]                               // 000000004EC0: D89A0000 00007C14
	v_mfma_f32_16x16x32_fp8_fp8 v[88:91], a[76:77], a[4:5], v[88:91]// 000000004EC8: D3F30058 1D62094C
	buffer_load_dword v25, v26, s[24:27], 0 offen              // 000000004ED0: E0501000 8006191A
	v_mfma_f32_16x16x32_fp8_fp8 v[88:91], a[78:79], a[6:7], v[88:91]// 000000004ED8: D3F30058 1D620D4E
	ds_write_b64 v20, v[128:129] offset:4112                   // 000000004EE0: D89A1010 00008014
	ds_write_b32 v21, v72 offset:32896                         // 000000004EE8: D81A8080 00004815
	ds_write_b32 v21, v73 offset:32960                         // 000000004EF0: D81A80C0 00004915
	v_mfma_f32_16x16x32_fp8_fp8 v[88:91], a[80:81], a[8:9], v[88:91]// 000000004EF8: D3F30058 1D621150
	buffer_load_dwordx4 v[192:195], v41, s[20:23], 0 offen     // 000000004F00: E05C1000 8005C029
	v_mfma_f32_16x16x32_fp8_fp8 v[88:91], a[82:83], a[10:11], v[88:91]// 000000004F08: D3F30058 1D621552
	ds_write_b64 v20, v[132:133] offset:8224                   // 000000004F10: D89A2020 00008414
	ds_write_b32 v21, v74 offset:33032                         // 000000004F18: D81A8108 00004A15
	ds_write_b32 v21, v75 offset:33096                         // 000000004F20: D81A8148 00004B15
	v_mfma_f32_16x16x32_fp8_fp8 v[88:91], a[84:85], a[12:13], v[88:91]// 000000004F28: D3F30058 1D621954
	v_mfma_f32_16x16x32_fp8_fp8 v[88:91], a[86:87], a[14:15], v[88:91]// 000000004F30: D3F30058 1D621D56
	ds_write_b64 v20, v[136:137] offset:12336                  // 000000004F38: D89A3030 00008814
	ds_write_b32 v21, v76 offset:33168                         // 000000004F40: D81A8190 00004C15
	ds_write_b32 v21, v77 offset:33232                         // 000000004F48: D81A81D0 00004D15
	v_mfma_f32_16x16x32_fp8_fp8 v[88:91], a[88:89], a[16:17], v[88:91]// 000000004F50: D3F30058 1D622158
	buffer_load_dwordx4 v[196:199], v42, s[20:23], 0 offen     // 000000004F58: E05C1000 8005C42A
	v_mfma_f32_16x16x32_fp8_fp8 v[88:91], a[90:91], a[18:19], v[88:91]// 000000004F60: D3F30058 1D62255A
	ds_write_b64 v20, v[140:141] offset:512                    // 000000004F68: D89A0200 00008C14
	ds_write_b32 v21, v78 offset:33304                         // 000000004F70: D81A8218 00004E15
	ds_write_b32 v21, v79 offset:33368                         // 000000004F78: D81A8258 00004F15
	v_mfma_f32_16x16x32_fp8_fp8 v[88:91], a[92:93], a[20:21], v[88:91]// 000000004F80: D3F30058 1D62295C
	v_mfma_f32_16x16x32_fp8_fp8 v[88:91], a[94:95], a[22:23], v[88:91]// 000000004F88: D3F30058 1D622D5E
	ds_write_b64 v20, v[144:145] offset:4624                   // 000000004F90: D89A1210 00009014
	v_mfma_f32_16x16x32_fp8_fp8 v[88:91], a[96:97], a[24:25], v[88:91]// 000000004F98: D3F30058 1D623160
	buffer_load_dwordx4 v[200:203], v43, s[20:23], 0 offen     // 000000004FA0: E05C1000 8005C82B
	v_mfma_f32_16x16x32_fp8_fp8 v[88:91], a[98:99], a[26:27], v[88:91]// 000000004FA8: D3F30058 1D623562
	ds_write_b64 v20, v[148:149] offset:8736                   // 000000004FB0: D89A2220 00009414
	v_mfma_f32_16x16x32_fp8_fp8 v[88:91], a[100:101], a[28:29], v[88:91]// 000000004FB8: D3F30058 1D623964
	buffer_load_dword v80, v36, s[20:23], 0 offen              // 000000004FC0: E0501000 80055024
	buffer_load_dword v81, v36, s[20:23], 0 offen offset:32    // 000000004FC8: E0501020 80055124
	v_mfma_f32_16x16x32_fp8_fp8 v[88:91], a[102:103], a[30:31], v[88:91]// 000000004FD0: D3F30058 1D623D66
	ds_write_b64 v20, v[152:153] offset:12848                  // 000000004FD8: D89A3230 00009814
	v_mfma_f32_16x16x32_fp8_fp8 v[88:91], a[104:105], a[32:33], v[88:91]// 000000004FE0: D3F30058 1D624168
	buffer_load_dwordx4 v[204:207], v44, s[20:23], 0 offen     // 000000004FE8: E05C1000 8005CC2C
	buffer_load_dword v82, v37, s[20:23], 0 offen              // 000000004FF0: E0501000 80055225
	buffer_load_dword v83, v37, s[20:23], 0 offen offset:32    // 000000004FF8: E0501020 80055325
	v_mfma_f32_16x16x32_fp8_fp8 v[88:91], a[106:107], a[34:35], v[88:91]// 000000005000: D3F30058 1D62456A
	s_waitcnt lgkmcnt(0)                                       // 000000005008: BF8CC07F
	s_barrier                                                  // 00000000500C: BF8A0000
	v_add_u32_e32 v26, s73, v26                                // 000000005010: 68343449
	buffer_load_dword v84, v38, s[20:23], 0 offen              // 000000005014: E0501000 80055426
	buffer_load_dword v85, v38, s[20:23], 0 offen offset:32    // 00000000501C: E0501020 80055526
	s_nop 8                                                    // 000000005024: BF800008
	v_mov_b32_e32 v8, v88                                      // 000000005028: 7E100358
	v_max3_f32 v8, v88, v89, v8                                // 00000000502C: D1D30008 0422B358
	v_max3_f32 v8, v90, v91, v8                                // 000000005034: D1D30008 0422B75A
	ds_write_b32 v5, v8 offset:41600                           // 00000000503C: D81AA280 00000805
	buffer_load_dword v86, v39, s[20:23], 0 offen              // 000000005044: E0501000 80055627
	buffer_load_dword v87, v39, s[20:23], 0 offen offset:32    // 00000000504C: E0501020 80055727
	s_waitcnt lgkmcnt(0)                                       // 000000005054: BF8CC07F
	s_barrier                                                  // 000000005058: BF8A0000
	ds_read_b32 v56, v4 offset:41600                           // 00000000505C: D86CA280 38000004
	buffer_load_dwordx4 v[208:211], v45, s[20:23], 0 offen     // 000000005064: E05C1000 8005D02D
	ds_read_b32 v57, v4 offset:41664                           // 00000000506C: D86CA2C0 39000004
	ds_read_b32 v58, v4 offset:41728                           // 000000005074: D86CA300 3A000004
	ds_read_b32 v59, v4 offset:41792                           // 00000000507C: D86CA340 3B000004
	ds_read_b32 v60, v4 offset:41856                           // 000000005084: D86CA380 3C000004
	ds_read_b32 v61, v4 offset:41920                           // 00000000508C: D86CA3C0 3D000004
	ds_read_b32 v62, v4 offset:41984                           // 000000005094: D86CA400 3E000004
	ds_read_b32 v63, v4 offset:42048                           // 00000000509C: D86CA440 3F000004
	ds_read_b32 v64, v4 offset:42112                           // 0000000050A4: D86CA480 40000004
	buffer_load_dwordx4 v[212:215], v46, s[20:23], 0 offen     // 0000000050AC: E05C1000 8005D42E
	ds_read_b32 v65, v4 offset:42176                           // 0000000050B4: D86CA4C0 41000004
	ds_read_b32 v66, v4 offset:42240                           // 0000000050BC: D86CA500 42000004
	ds_read_b32 v67, v4 offset:42304                           // 0000000050C4: D86CA540 43000004
	ds_read_b32 v68, v4 offset:42368                           // 0000000050CC: D86CA580 44000004
	ds_read_b32 v69, v4 offset:42432                           // 0000000050D4: D86CA5C0 45000004
	ds_read_b32 v70, v4 offset:42496                           // 0000000050DC: D86CA600 46000004
	ds_read_b32 v71, v4 offset:42560                           // 0000000050E4: D86CA640 47000004
	buffer_load_dwordx4 v[216:219], v47, s[20:23], 0 offen     // 0000000050EC: E05C1000 8005D82F
	s_waitcnt lgkmcnt(0)                                       // 0000000050F4: BF8CC07F
	v_max3_f32 v8, v56, v57, v8                                // 0000000050F8: D1D30008 04227338
	v_max3_f32 v8, v58, v59, v8                                // 000000005100: D1D30008 0422773A
	v_max3_f32 v8, v60, v61, v8                                // 000000005108: D1D30008 04227B3C
	v_max3_f32 v8, v62, v63, v8                                // 000000005110: D1D30008 04227F3E
	v_max3_f32 v8, v64, v65, v8                                // 000000005118: D1D30008 04228340
	v_max3_f32 v8, v66, v67, v8                                // 000000005120: D1D30008 04228742
	v_max3_f32 v8, v68, v69, v8                                // 000000005128: D1D30008 04228B44
	v_max3_f32 v8, v70, v71, v8                                // 000000005130: D1D30008 04228F46
	buffer_load_dwordx4 v[220:223], v48, s[20:23], 0 offen     // 000000005138: E05C1000 8005DC30
	v_cmp_eq_u32_e64 s[32:33], v11, v12                        // 000000005140: D0CA0020 0002190B
	v_max_f32_e32 v13, v8, v12                                 // 000000005148: 161A1908
	v_sub_f32_e32 v18, v12, v13                                // 00000000514C: 04241B0C
	v_cndmask_b32_e64 v18, v18, 0, s[32:33]                    // 000000005150: D1000012 00810112
	v_mov_b32_e32 v12, v13                                     // 000000005158: 7E18030D
	v_mul_f32_e32 v9, s5, v13                                  // 00000000515C: 0A121A05
	v_mul_f32_e32 v18, s5, v18                                 // 000000005160: 0A242405
	v_exp_f32_e32 v18, v18                                     // 000000005164: 7E244112
	buffer_load_dwordx4 v[224:227], v49, s[20:23], 0 offen     // 000000005168: E05C1000 8005E031
	v_fma_f32 v88, v88, s5, -v9                                // 000000005170: D1CB0058 84240B58
	v_fma_f32 v89, v89, s5, -v9                                // 000000005178: D1CB0059 84240B59
	v_fma_f32 v90, v90, s5, -v9                                // 000000005180: D1CB005A 84240B5A
	v_fma_f32 v91, v91, s5, -v9                                // 000000005188: D1CB005B 84240B5B
	v_exp_f32_e32 v88, v88                                     // 000000005190: 7EB04158
	v_exp_f32_e32 v89, v89                                     // 000000005194: 7EB24159
	v_exp_f32_e32 v90, v90                                     // 000000005198: 7EB4415A
	v_exp_f32_e32 v91, v91                                     // 00000000519C: 7EB6415B
	buffer_load_dwordx4 v[228:231], v50, s[20:23], 0 offen     // 0000000051A0: E05C1000 8005E432
	v_mul_f32_e32 v14, v18, v14                                // 0000000051A8: 0A1C1D12
	v_mov_b32_e32 v15, v88                                     // 0000000051AC: 7E1E0358
	v_add_f32_e32 v15, v89, v15                                // 0000000051B0: 021E1F59
	v_add_f32_e32 v15, v90, v15                                // 0000000051B4: 021E1F5A
	v_add_f32_e32 v15, v91, v15                                // 0000000051B8: 021E1F5B
	v_add_f32_e32 v14, v15, v14                                // 0000000051BC: 021C1D0F
	buffer_load_dwordx4 v[232:235], v51, s[20:23], 0 offen     // 0000000051C0: E05C1000 8005E833
	v_cvt_pk_fp8_f32 v88, v88, v89                             // 0000000051C8: D2A20058 0002B358
	s_nop 1                                                    // 0000000051D0: BF800001
	v_cvt_pk_fp8_f32 v88, v90, v91 op_sel:[0,0,1]              // 0000000051D4: D2A24058 0002B75A
	ds_write_b32 v7, v88 offset:42624                          // 0000000051DC: D81AA680 00005807
	buffer_load_dwordx4 v[236:239], v52, s[20:23], 0 offen     // 0000000051E4: E05C1000 8005EC34
	buffer_load_dwordx4 v[240:243], v53, s[20:23], 0 offen     // 0000000051EC: E05C1000 8005F035
	buffer_load_dwordx4 v[244:247], v54, s[20:23], 0 offen     // 0000000051F4: E05C1000 8005F436
	buffer_load_dwordx4 v[248:251], v55, s[20:23], 0 offen     // 0000000051FC: E05C1000 8005F837
	s_waitcnt lgkmcnt(0)                                       // 000000005204: BF8CC07F
	s_barrier                                                  // 000000005208: BF8A0000
	ds_read_b32 v88, v6 offset:42624                           // 00000000520C: D86CA680 58000006
	ds_read_b32 v89, v6 offset:42688                           // 000000005214: D86CA6C0 59000006
	ds_read_b32 v90, v6 offset:43136                           // 00000000521C: D86CA880 5A000006
	ds_read_b32 v91, v6 offset:43200                           // 000000005224: D86CA8C0 5B000006
	v_mul_u32_u24_dpp v40, v24, v10 row_newbcast:0 row_mask:0xf bank_mask:0xf// 00000000522C: 105014FA FF015018
	v_mul_u32_u24_dpp v41, v24, v10 row_newbcast:1 row_mask:0xf bank_mask:0xf// 000000005234: 105214FA FF015118
	v_mul_u32_u24_dpp v42, v24, v10 row_newbcast:2 row_mask:0xf bank_mask:0xf// 00000000523C: 105414FA FF015218
	v_mul_u32_u24_dpp v43, v24, v10 row_newbcast:3 row_mask:0xf bank_mask:0xf// 000000005244: 105614FA FF015318
	v_mul_u32_u24_dpp v44, v24, v10 row_newbcast:4 row_mask:0xf bank_mask:0xf// 00000000524C: 105814FA FF015418
	v_mul_u32_u24_dpp v45, v24, v10 row_newbcast:5 row_mask:0xf bank_mask:0xf// 000000005254: 105A14FA FF015518
	v_mul_u32_u24_dpp v46, v24, v10 row_newbcast:6 row_mask:0xf bank_mask:0xf// 00000000525C: 105C14FA FF015618
	v_mul_u32_u24_dpp v47, v24, v10 row_newbcast:7 row_mask:0xf bank_mask:0xf// 000000005264: 105E14FA FF015718
	v_mul_u32_u24_dpp v48, v24, v10 row_newbcast:8 row_mask:0xf bank_mask:0xf// 00000000526C: 106014FA FF015818
	v_mul_u32_u24_dpp v49, v24, v10 row_newbcast:9 row_mask:0xf bank_mask:0xf// 000000005274: 106214FA FF015918
	v_mul_u32_u24_dpp v50, v24, v10 row_newbcast:10 row_mask:0xf bank_mask:0xf// 00000000527C: 106414FA FF015A18
	v_mul_u32_u24_dpp v51, v24, v10 row_newbcast:11 row_mask:0xf bank_mask:0xf// 000000005284: 106614FA FF015B18
	v_mul_u32_u24_dpp v52, v24, v10 row_newbcast:12 row_mask:0xf bank_mask:0xf// 00000000528C: 106814FA FF015C18
	v_mul_u32_u24_dpp v53, v24, v10 row_newbcast:13 row_mask:0xf bank_mask:0xf// 000000005294: 106A14FA FF015D18
	v_mul_u32_u24_dpp v54, v24, v10 row_newbcast:14 row_mask:0xf bank_mask:0xf// 00000000529C: 106C14FA FF015E18
	v_mul_u32_u24_dpp v55, v24, v10 row_newbcast:15 row_mask:0xf bank_mask:0xf// 0000000052A4: 106E14FA FF015F18
	s_mov_b32 s56, m0                                          // 0000000052AC: BEB8007C
	s_set_gpr_idx_on s51, gpr_idx(SRC0)                        // 0000000052B0: BF110133
	v_add_u32_e32 v36, v40, v3                                 // 0000000052B4: 68480728
	v_add_u32_e32 v37, v41, v3                                 // 0000000052B8: 684A0729
	v_add_u32_e32 v38, v42, v3                                 // 0000000052BC: 684C072A
	v_add_u32_e32 v39, v43, v3                                 // 0000000052C0: 684E072B
	s_set_gpr_idx_off                                          // 0000000052C4: BF9C0000
	s_mov_b32 m0, s56                                          // 0000000052C8: BEFC0038
	v_add_u32_e32 v40, v40, v2                                 // 0000000052CC: 68500528
	v_add_u32_e32 v41, v41, v2                                 // 0000000052D0: 68520529
	v_add_u32_e32 v42, v42, v2                                 // 0000000052D4: 6854052A
	v_add_u32_e32 v43, v43, v2                                 // 0000000052D8: 6856052B
	v_add_u32_e32 v44, v44, v2                                 // 0000000052DC: 6858052C
	v_add_u32_e32 v45, v45, v2                                 // 0000000052E0: 685A052D
	v_add_u32_e32 v46, v46, v2                                 // 0000000052E4: 685C052E
	v_add_u32_e32 v47, v47, v2                                 // 0000000052E8: 685E052F
	v_add_u32_e32 v48, v48, v2                                 // 0000000052EC: 68600530
	v_add_u32_e32 v49, v49, v2                                 // 0000000052F0: 68620531
	v_add_u32_e32 v50, v50, v2                                 // 0000000052F4: 68640532
	v_add_u32_e32 v51, v51, v2                                 // 0000000052F8: 68660533
	v_add_u32_e32 v52, v52, v2                                 // 0000000052FC: 68680534
	v_add_u32_e32 v53, v53, v2                                 // 000000005300: 686A0535
	v_add_u32_e32 v54, v54, v2                                 // 000000005304: 686C0536
	v_add_u32_e32 v55, v55, v2                                 // 000000005308: 686E0537
	s_waitcnt lgkmcnt(0)                                       // 00000000530C: BF8CC07F
	v_mul_f32_e32 v92, v18, v92                                // 000000005310: 0AB8B912
	v_mul_f32_e32 v93, v18, v93                                // 000000005314: 0ABABB12
	v_mul_f32_e32 v94, v18, v94                                // 000000005318: 0ABCBD12
	v_mul_f32_e32 v95, v18, v95                                // 00000000531C: 0ABEBF12
	v_mul_f32_e32 v96, v18, v96                                // 000000005320: 0AC0C112
	v_mul_f32_e32 v97, v18, v97                                // 000000005324: 0AC2C312
	v_mul_f32_e32 v98, v18, v98                                // 000000005328: 0AC4C512
	v_mul_f32_e32 v99, v18, v99                                // 00000000532C: 0AC6C712
	v_mul_f32_e32 v100, v18, v100                              // 000000005330: 0AC8C912
	v_mul_f32_e32 v101, v18, v101                              // 000000005334: 0ACACB12
	v_mul_f32_e32 v102, v18, v102                              // 000000005338: 0ACCCD12
	v_mul_f32_e32 v103, v18, v103                              // 00000000533C: 0ACECF12
	v_mul_f32_e32 v104, v18, v104                              // 000000005340: 0AD0D112
	v_mul_f32_e32 v105, v18, v105                              // 000000005344: 0AD2D312
	v_mul_f32_e32 v106, v18, v106                              // 000000005348: 0AD4D512
	v_mul_f32_e32 v107, v18, v107                              // 00000000534C: 0AD6D712
	v_mul_f32_e32 v108, v18, v108                              // 000000005350: 0AD8D912
	v_mul_f32_e32 v109, v18, v109                              // 000000005354: 0ADADB12
	v_mul_f32_e32 v110, v18, v110                              // 000000005358: 0ADCDD12
	v_mul_f32_e32 v111, v18, v111                              // 00000000535C: 0ADEDF12
	v_mul_f32_e32 v112, v18, v112                              // 000000005360: 0AE0E112
	v_mul_f32_e32 v113, v18, v113                              // 000000005364: 0AE2E312
	v_mul_f32_e32 v114, v18, v114                              // 000000005368: 0AE4E512
	v_mul_f32_e32 v115, v18, v115                              // 00000000536C: 0AE6E712
	v_mul_f32_e32 v116, v18, v116                              // 000000005370: 0AE8E912
	v_mul_f32_e32 v117, v18, v117                              // 000000005374: 0AEAEB12
	v_mul_f32_e32 v118, v18, v118                              // 000000005378: 0AECED12
	v_mul_f32_e32 v119, v18, v119                              // 00000000537C: 0AEEEF12
	v_mul_f32_e32 v120, v18, v120                              // 000000005380: 0AF0F112
	v_mul_f32_e32 v121, v18, v121                              // 000000005384: 0AF2F312
	v_mul_f32_e32 v122, v18, v122                              // 000000005388: 0AF4F512
	v_mul_f32_e32 v123, v18, v123                              // 00000000538C: 0AF6F712
	s_waitcnt vmcnt(25)                                        // 000000005390: BF8C4F79
	v_mfma_f32_16x16x32_fp8_fp8 v[92:95], a[144:145], v[88:89], v[92:95]// 000000005394: D3F3005C 0D72B190
	ds_write_b64 v20, v[156:157]                               // 00000000539C: D89A0000 00009C14
	v_mfma_f32_16x16x32_fp8_fp8 v[92:95], a[146:147], v[90:91], v[92:95]// 0000000053A4: D3F3005C 0D72B592
	v_mfma_f32_16x16x32_fp8_fp8 v[96:99], a[152:153], v[88:89], v[96:99]// 0000000053AC: D3F30060 0D82B198
	ds_write_b64 v20, v[160:161] offset:4112                   // 0000000053B4: D89A1010 0000A014
	v_mfma_f32_16x16x32_fp8_fp8 v[96:99], a[154:155], v[90:91], v[96:99]// 0000000053BC: D3F30060 0D82B59A
	v_mfma_f32_16x16x32_fp8_fp8 v[100:103], a[160:161], v[88:89], v[100:103]// 0000000053C4: D3F30064 0D92B1A0
	ds_write_b64 v20, v[164:165] offset:8224                   // 0000000053CC: D89A2020 0000A414
	v_mfma_f32_16x16x32_fp8_fp8 v[100:103], a[162:163], v[90:91], v[100:103]// 0000000053D4: D3F30064 0D92B5A2
	v_mfma_f32_16x16x32_fp8_fp8 v[104:107], a[168:169], v[88:89], v[104:107]// 0000000053DC: D3F30068 0DA2B1A8
	ds_write_b64 v20, v[168:169] offset:12336                  // 0000000053E4: D89A3030 0000A814
	v_mfma_f32_16x16x32_fp8_fp8 v[104:107], a[170:171], v[90:91], v[104:107]// 0000000053EC: D3F30068 0DA2B5AA
	v_mfma_f32_16x16x32_fp8_fp8 v[108:111], a[176:177], v[88:89], v[108:111]// 0000000053F4: D3F3006C 0DB2B1B0
	ds_write_b64 v20, v[172:173] offset:512                    // 0000000053FC: D89A0200 0000AC14
	v_mfma_f32_16x16x32_fp8_fp8 v[108:111], a[178:179], v[90:91], v[108:111]// 000000005404: D3F3006C 0DB2B5B2
	v_mfma_f32_16x16x32_fp8_fp8 v[112:115], a[184:185], v[88:89], v[112:115]// 00000000540C: D3F30070 0DC2B1B8
	ds_write_b64 v20, v[176:177] offset:4624                   // 000000005414: D89A1210 0000B014
	v_mfma_f32_16x16x32_fp8_fp8 v[112:115], a[186:187], v[90:91], v[112:115]// 00000000541C: D3F30070 0DC2B5BA
	v_mfma_f32_16x16x32_fp8_fp8 v[116:119], a[192:193], v[88:89], v[116:119]// 000000005424: D3F30074 0DD2B1C0
	ds_write_b64 v20, v[180:181] offset:8736                   // 00000000542C: D89A2220 0000B414
	v_mfma_f32_16x16x32_fp8_fp8 v[116:119], a[194:195], v[90:91], v[116:119]// 000000005434: D3F30074 0DD2B5C2
	v_mfma_f32_16x16x32_fp8_fp8 v[120:123], a[200:201], v[88:89], v[120:123]// 00000000543C: D3F30078 0DE2B1C8
	ds_write_b64 v20, v[184:185] offset:12848                  // 000000005444: D89A3230 0000B814
	v_mfma_f32_16x16x32_fp8_fp8 v[120:123], a[202:203], v[90:91], v[120:123]// 00000000544C: D3F30078 0DE2B5CA
	s_waitcnt lgkmcnt(0)                                       // 000000005454: BF8CC07F
	s_barrier                                                  // 000000005458: BF8A0000
	ds_read_b64 a[72:73], v22                                  // 00000000545C: DAEC0000 48000016
	ds_read_b64 a[74:75], v22 offset:32                        // 000000005464: DAEC0020 4A000016
	ds_read_b64 a[76:77], v22 offset:64                        // 00000000546C: DAEC0040 4C000016
	ds_read_b64 a[78:79], v22 offset:96                        // 000000005474: DAEC0060 4E000016
	ds_read_b64 a[80:81], v22 offset:128                       // 00000000547C: DAEC0080 50000016
	ds_read_b64 a[82:83], v22 offset:160                       // 000000005484: DAEC00A0 52000016
	ds_read_b64 a[84:85], v22 offset:192                       // 00000000548C: DAEC00C0 54000016
	ds_read_b64 a[86:87], v22 offset:224                       // 000000005494: DAEC00E0 56000016
	ds_read_b64 a[88:89], v22 offset:256                       // 00000000549C: DAEC0100 58000016
	ds_read_b64 a[90:91], v22 offset:288                       // 0000000054A4: DAEC0120 5A000016
	ds_read_b64 a[92:93], v22 offset:320                       // 0000000054AC: DAEC0140 5C000016
	ds_read_b64 a[94:95], v22 offset:352                       // 0000000054B4: DAEC0160 5E000016
	ds_read_b64 a[96:97], v22 offset:384                       // 0000000054BC: DAEC0180 60000016
	ds_read_b64 a[98:99], v22 offset:416                       // 0000000054C4: DAEC01A0 62000016
	ds_read_b64 a[100:101], v22 offset:448                     // 0000000054CC: DAEC01C0 64000016
	ds_read_b64 a[102:103], v22 offset:480                     // 0000000054D4: DAEC01E0 66000016
	ds_read_b64 a[104:105], v23 offset:32896                   // 0000000054DC: DAEC8080 68000017
	ds_read_b64 a[106:107], v23 offset:32928                   // 0000000054E4: DAEC80A0 6A000017
	ds_read_b64 a[108:109], v23 offset:32960                   // 0000000054EC: DAEC80C0 6C000017
	ds_read_b64 a[110:111], v23 offset:32992                   // 0000000054F4: DAEC80E0 6E000017
	s_waitcnt lgkmcnt(0)                                       // 0000000054FC: BF8CC07F
	s_mov_b32 s52, 0xc0c0400                                   // 000000005500: BEB400FF 0C0C0400
	s_mov_b32 s53, 0x4000c0c                                   // 000000005508: BEB500FF 04000C0C
	v_perm_b32 v56, v128, v124, s52                            // 000000005510: D1ED0038 00D2F980
	v_perm_b32 v57, v136, v132, s53                            // 000000005518: D1ED0039 00D70988
	v_or_b32_e32 v58, v57, v56                                 // 000000005520: 28747139
	v_accvgpr_write_b32 a144, v58                              // 000000005524: D3D94090 1800013A
	v_perm_b32 v56, v144, v140, s52                            // 00000000552C: D1ED0038 00D31990
	v_perm_b32 v57, v152, v148, s53                            // 000000005534: D1ED0039 00D72998
	v_or_b32_e32 v58, v57, v56                                 // 00000000553C: 28747139
	v_accvgpr_write_b32 a145, v58                              // 000000005540: D3D94091 1800013A
	v_perm_b32 v56, v160, v156, s52                            // 000000005548: D1ED0038 00D339A0
	v_perm_b32 v57, v168, v164, s53                            // 000000005550: D1ED0039 00D749A8
	v_or_b32_e32 v58, v57, v56                                 // 000000005558: 28747139
	v_accvgpr_write_b32 a146, v58                              // 00000000555C: D3D94092 1800013A
	v_perm_b32 v56, v176, v172, s52                            // 000000005564: D1ED0038 00D359B0
	v_perm_b32 v57, v184, v180, s53                            // 00000000556C: D1ED0039 00D769B8
	v_or_b32_e32 v58, v57, v56                                 // 000000005574: 28747139
	v_accvgpr_write_b32 a147, v58                              // 000000005578: D3D94093 1800013A
	s_mov_b32 s52, 0xc0c0501                                   // 000000005580: BEB400FF 0C0C0501
	s_mov_b32 s53, 0x5010c0c                                   // 000000005588: BEB500FF 05010C0C
	v_perm_b32 v56, v128, v124, s52                            // 000000005590: D1ED0038 00D2F980
	v_perm_b32 v57, v136, v132, s53                            // 000000005598: D1ED0039 00D70988
	v_or_b32_e32 v58, v57, v56                                 // 0000000055A0: 28747139
	v_accvgpr_write_b32 a152, v58                              // 0000000055A4: D3D94098 1800013A
	v_perm_b32 v56, v144, v140, s52                            // 0000000055AC: D1ED0038 00D31990
	v_perm_b32 v57, v152, v148, s53                            // 0000000055B4: D1ED0039 00D72998
	v_or_b32_e32 v58, v57, v56                                 // 0000000055BC: 28747139
	v_accvgpr_write_b32 a153, v58                              // 0000000055C0: D3D94099 1800013A
	v_perm_b32 v56, v160, v156, s52                            // 0000000055C8: D1ED0038 00D339A0
	v_perm_b32 v57, v168, v164, s53                            // 0000000055D0: D1ED0039 00D749A8
	v_or_b32_e32 v58, v57, v56                                 // 0000000055D8: 28747139
	v_accvgpr_write_b32 a154, v58                              // 0000000055DC: D3D9409A 1800013A
	v_perm_b32 v56, v176, v172, s52                            // 0000000055E4: D1ED0038 00D359B0
	v_perm_b32 v57, v184, v180, s53                            // 0000000055EC: D1ED0039 00D769B8
	v_or_b32_e32 v58, v57, v56                                 // 0000000055F4: 28747139
	v_accvgpr_write_b32 a155, v58                              // 0000000055F8: D3D9409B 1800013A
	s_mov_b32 s52, 0xc0c0602                                   // 000000005600: BEB400FF 0C0C0602
	s_mov_b32 s53, 0x6020c0c                                   // 000000005608: BEB500FF 06020C0C
	v_perm_b32 v56, v128, v124, s52                            // 000000005610: D1ED0038 00D2F980
	v_perm_b32 v57, v136, v132, s53                            // 000000005618: D1ED0039 00D70988
	v_or_b32_e32 v58, v57, v56                                 // 000000005620: 28747139
	v_accvgpr_write_b32 a160, v58                              // 000000005624: D3D940A0 1800013A
	v_perm_b32 v56, v144, v140, s52                            // 00000000562C: D1ED0038 00D31990
	v_perm_b32 v57, v152, v148, s53                            // 000000005634: D1ED0039 00D72998
	v_or_b32_e32 v58, v57, v56                                 // 00000000563C: 28747139
	v_accvgpr_write_b32 a161, v58                              // 000000005640: D3D940A1 1800013A
	v_perm_b32 v56, v160, v156, s52                            // 000000005648: D1ED0038 00D339A0
	v_perm_b32 v57, v168, v164, s53                            // 000000005650: D1ED0039 00D749A8
	v_or_b32_e32 v58, v57, v56                                 // 000000005658: 28747139
	v_accvgpr_write_b32 a162, v58                              // 00000000565C: D3D940A2 1800013A
	v_perm_b32 v56, v176, v172, s52                            // 000000005664: D1ED0038 00D359B0
	v_perm_b32 v57, v184, v180, s53                            // 00000000566C: D1ED0039 00D769B8
	v_or_b32_e32 v58, v57, v56                                 // 000000005674: 28747139
	v_accvgpr_write_b32 a163, v58                              // 000000005678: D3D940A3 1800013A
	s_mov_b32 s52, 0xc0c0703                                   // 000000005680: BEB400FF 0C0C0703
	s_mov_b32 s53, 0x7030c0c                                   // 000000005688: BEB500FF 07030C0C
	v_perm_b32 v56, v128, v124, s52                            // 000000005690: D1ED0038 00D2F980
	v_perm_b32 v57, v136, v132, s53                            // 000000005698: D1ED0039 00D70988
	v_or_b32_e32 v58, v57, v56                                 // 0000000056A0: 28747139
	v_accvgpr_write_b32 a168, v58                              // 0000000056A4: D3D940A8 1800013A
	v_perm_b32 v56, v144, v140, s52                            // 0000000056AC: D1ED0038 00D31990
	v_perm_b32 v57, v152, v148, s53                            // 0000000056B4: D1ED0039 00D72998
	v_or_b32_e32 v58, v57, v56                                 // 0000000056BC: 28747139
	v_accvgpr_write_b32 a169, v58                              // 0000000056C0: D3D940A9 1800013A
	v_perm_b32 v56, v160, v156, s52                            // 0000000056C8: D1ED0038 00D339A0
	v_perm_b32 v57, v168, v164, s53                            // 0000000056D0: D1ED0039 00D749A8
	v_or_b32_e32 v58, v57, v56                                 // 0000000056D8: 28747139
	v_accvgpr_write_b32 a170, v58                              // 0000000056DC: D3D940AA 1800013A
	v_perm_b32 v56, v176, v172, s52                            // 0000000056E4: D1ED0038 00D359B0
	v_perm_b32 v57, v184, v180, s53                            // 0000000056EC: D1ED0039 00D769B8
	v_or_b32_e32 v58, v57, v56                                 // 0000000056F4: 28747139
	v_accvgpr_write_b32 a171, v58                              // 0000000056F8: D3D940AB 1800013A
	s_mov_b32 s52, 0xc0c0400                                   // 000000005700: BEB400FF 0C0C0400
	s_mov_b32 s53, 0x4000c0c                                   // 000000005708: BEB500FF 04000C0C
	v_perm_b32 v56, v129, v125, s52                            // 000000005710: D1ED0038 00D2FB81
	v_perm_b32 v57, v137, v133, s53                            // 000000005718: D1ED0039 00D70B89
	v_or_b32_e32 v58, v57, v56                                 // 000000005720: 28747139
	v_accvgpr_write_b32 a176, v58                              // 000000005724: D3D940B0 1800013A
	v_perm_b32 v56, v145, v141, s52                            // 00000000572C: D1ED0038 00D31B91
	v_perm_b32 v57, v153, v149, s53                            // 000000005734: D1ED0039 00D72B99
	v_or_b32_e32 v58, v57, v56                                 // 00000000573C: 28747139
	v_accvgpr_write_b32 a177, v58                              // 000000005740: D3D940B1 1800013A
	v_perm_b32 v56, v161, v157, s52                            // 000000005748: D1ED0038 00D33BA1
	v_perm_b32 v57, v169, v165, s53                            // 000000005750: D1ED0039 00D74BA9
	v_or_b32_e32 v58, v57, v56                                 // 000000005758: 28747139
	v_accvgpr_write_b32 a178, v58                              // 00000000575C: D3D940B2 1800013A
	v_perm_b32 v56, v177, v173, s52                            // 000000005764: D1ED0038 00D35BB1
	v_perm_b32 v57, v185, v181, s53                            // 00000000576C: D1ED0039 00D76BB9
	v_or_b32_e32 v58, v57, v56                                 // 000000005774: 28747139
	v_accvgpr_write_b32 a179, v58                              // 000000005778: D3D940B3 1800013A
	s_mov_b32 s52, 0xc0c0501                                   // 000000005780: BEB400FF 0C0C0501
	s_mov_b32 s53, 0x5010c0c                                   // 000000005788: BEB500FF 05010C0C
	v_perm_b32 v56, v129, v125, s52                            // 000000005790: D1ED0038 00D2FB81
	v_perm_b32 v57, v137, v133, s53                            // 000000005798: D1ED0039 00D70B89
	v_or_b32_e32 v58, v57, v56                                 // 0000000057A0: 28747139
	v_accvgpr_write_b32 a184, v58                              // 0000000057A4: D3D940B8 1800013A
	v_perm_b32 v56, v145, v141, s52                            // 0000000057AC: D1ED0038 00D31B91
	v_perm_b32 v57, v153, v149, s53                            // 0000000057B4: D1ED0039 00D72B99
	v_or_b32_e32 v58, v57, v56                                 // 0000000057BC: 28747139
	v_accvgpr_write_b32 a185, v58                              // 0000000057C0: D3D940B9 1800013A
	v_perm_b32 v56, v161, v157, s52                            // 0000000057C8: D1ED0038 00D33BA1
	v_perm_b32 v57, v169, v165, s53                            // 0000000057D0: D1ED0039 00D74BA9
	v_or_b32_e32 v58, v57, v56                                 // 0000000057D8: 28747139
	v_accvgpr_write_b32 a186, v58                              // 0000000057DC: D3D940BA 1800013A
	v_perm_b32 v56, v177, v173, s52                            // 0000000057E4: D1ED0038 00D35BB1
	v_perm_b32 v57, v185, v181, s53                            // 0000000057EC: D1ED0039 00D76BB9
	v_or_b32_e32 v58, v57, v56                                 // 0000000057F4: 28747139
	v_accvgpr_write_b32 a187, v58                              // 0000000057F8: D3D940BB 1800013A
	s_mov_b32 s52, 0xc0c0602                                   // 000000005800: BEB400FF 0C0C0602
	s_mov_b32 s53, 0x6020c0c                                   // 000000005808: BEB500FF 06020C0C
	v_perm_b32 v56, v129, v125, s52                            // 000000005810: D1ED0038 00D2FB81
	v_perm_b32 v57, v137, v133, s53                            // 000000005818: D1ED0039 00D70B89
	v_or_b32_e32 v58, v57, v56                                 // 000000005820: 28747139
	v_accvgpr_write_b32 a192, v58                              // 000000005824: D3D940C0 1800013A
	v_perm_b32 v56, v145, v141, s52                            // 00000000582C: D1ED0038 00D31B91
	v_perm_b32 v57, v153, v149, s53                            // 000000005834: D1ED0039 00D72B99
	v_or_b32_e32 v58, v57, v56                                 // 00000000583C: 28747139
	v_accvgpr_write_b32 a193, v58                              // 000000005840: D3D940C1 1800013A
	v_perm_b32 v56, v161, v157, s52                            // 000000005848: D1ED0038 00D33BA1
	v_perm_b32 v57, v169, v165, s53                            // 000000005850: D1ED0039 00D74BA9
	v_or_b32_e32 v58, v57, v56                                 // 000000005858: 28747139
	v_accvgpr_write_b32 a194, v58                              // 00000000585C: D3D940C2 1800013A
	v_perm_b32 v56, v177, v173, s52                            // 000000005864: D1ED0038 00D35BB1
	v_perm_b32 v57, v185, v181, s53                            // 00000000586C: D1ED0039 00D76BB9
	v_or_b32_e32 v58, v57, v56                                 // 000000005874: 28747139
	v_accvgpr_write_b32 a195, v58                              // 000000005878: D3D940C3 1800013A
	s_mov_b32 s52, 0xc0c0703                                   // 000000005880: BEB400FF 0C0C0703
	s_mov_b32 s53, 0x7030c0c                                   // 000000005888: BEB500FF 07030C0C
	v_perm_b32 v56, v129, v125, s52                            // 000000005890: D1ED0038 00D2FB81
	v_perm_b32 v57, v137, v133, s53                            // 000000005898: D1ED0039 00D70B89
	v_or_b32_e32 v58, v57, v56                                 // 0000000058A0: 28747139
	v_accvgpr_write_b32 a200, v58                              // 0000000058A4: D3D940C8 1800013A
	v_perm_b32 v56, v145, v141, s52                            // 0000000058AC: D1ED0038 00D31B91
	v_perm_b32 v57, v153, v149, s53                            // 0000000058B4: D1ED0039 00D72B99
	v_or_b32_e32 v58, v57, v56                                 // 0000000058BC: 28747139
	v_accvgpr_write_b32 a201, v58                              // 0000000058C0: D3D940C9 1800013A
	v_perm_b32 v56, v161, v157, s52                            // 0000000058C8: D1ED0038 00D33BA1
	v_perm_b32 v57, v169, v165, s53                            // 0000000058D0: D1ED0039 00D74BA9
	v_or_b32_e32 v58, v57, v56                                 // 0000000058D8: 28747139
	v_accvgpr_write_b32 a202, v58                              // 0000000058DC: D3D940CA 1800013A
	v_perm_b32 v56, v177, v173, s52                            // 0000000058E4: D1ED0038 00D35BB1
	v_perm_b32 v57, v185, v181, s53                            // 0000000058EC: D1ED0039 00D76BB9
	v_or_b32_e32 v58, v57, v56                                 // 0000000058F4: 28747139
	v_accvgpr_write_b32 a203, v58                              // 0000000058F8: D3D940CB 1800013A
	s_addk_i32 s70, 0x1                                        // 000000005900: B7460001
	s_cmp_lt_i32 s70, s71                                      // 000000005904: BF044746
	s_cbranch_scc0 label_aligned_exit                          // 000000005908: BF84FAC7
	s_branch label_core_loop_1                                 // 00000000590C: BF82FAC9

0000000000005910 <label_main_loops_exit>:
	s_cmp_eq_i32 s48, 0                                        // 000000005910: BF008030
	s_cbranch_scc1 label_tail_exit                             // 000000005914: BF85025F

0000000000005918 <label_tail_process>:
	s_and_b32 s56, s71, 1                                      // 000000005918: 86388147
	s_cmp_eq_i32 s56, 1                                        // 00000000591C: BF008138
	s_cbranch_scc1 label_tail_loop_1                           // 000000005920: BF85012E

0000000000005924 <label_tail_loop_0>:
	s_waitcnt vmcnt(0) expcnt(0) lgkmcnt(0)                    // 000000005924: BF8C0000
	s_barrier                                                  // 000000005928: BF8A0000
	v_mfma_f32_16x16x32_fp8_fp8 v[88:91], a[72:73], a[0:1], 0  // 00000000592C: D3F30058 1A020148
	v_mfma_f32_16x16x32_fp8_fp8 v[88:91], a[74:75], a[2:3], v[88:91]// 000000005934: D3F30058 1D62054A
	v_mfma_f32_16x16x32_fp8_fp8 v[88:91], a[76:77], a[4:5], v[88:91]// 00000000593C: D3F30058 1D62094C
	v_mfma_f32_16x16x32_fp8_fp8 v[88:91], a[78:79], a[6:7], v[88:91]// 000000005944: D3F30058 1D620D4E
	v_mfma_f32_16x16x32_fp8_fp8 v[88:91], a[80:81], a[8:9], v[88:91]// 00000000594C: D3F30058 1D621150
	v_mfma_f32_16x16x32_fp8_fp8 v[88:91], a[82:83], a[10:11], v[88:91]// 000000005954: D3F30058 1D621552
	v_mfma_f32_16x16x32_fp8_fp8 v[88:91], a[84:85], a[12:13], v[88:91]// 00000000595C: D3F30058 1D621954
	v_mfma_f32_16x16x32_fp8_fp8 v[88:91], a[86:87], a[14:15], v[88:91]// 000000005964: D3F30058 1D621D56
	v_mfma_f32_16x16x32_fp8_fp8 v[88:91], a[88:89], a[16:17], v[88:91]// 00000000596C: D3F30058 1D622158
	v_mfma_f32_16x16x32_fp8_fp8 v[88:91], a[90:91], a[18:19], v[88:91]// 000000005974: D3F30058 1D62255A
	v_mfma_f32_16x16x32_fp8_fp8 v[88:91], a[92:93], a[20:21], v[88:91]// 00000000597C: D3F30058 1D62295C
	v_mfma_f32_16x16x32_fp8_fp8 v[88:91], a[94:95], a[22:23], v[88:91]// 000000005984: D3F30058 1D622D5E
	v_mfma_f32_16x16x32_fp8_fp8 v[88:91], a[96:97], a[24:25], v[88:91]// 00000000598C: D3F30058 1D623160
	v_mfma_f32_16x16x32_fp8_fp8 v[88:91], a[98:99], a[26:27], v[88:91]// 000000005994: D3F30058 1D623562
	v_mfma_f32_16x16x32_fp8_fp8 v[88:91], a[100:101], a[28:29], v[88:91]// 00000000599C: D3F30058 1D623964
	v_mfma_f32_16x16x32_fp8_fp8 v[88:91], a[102:103], a[30:31], v[88:91]// 0000000059A4: D3F30058 1D623D66
	v_mfma_f32_16x16x32_fp8_fp8 v[88:91], a[104:105], a[32:33], v[88:91]// 0000000059AC: D3F30058 1D624168
	v_mfma_f32_16x16x32_fp8_fp8 v[88:91], a[106:107], a[34:35], v[88:91]// 0000000059B4: D3F30058 1D62456A
	s_nop 8                                                    // 0000000059BC: BF800008
	s_and_b32 s56, s48, 0xff                                   // 0000000059C0: 8638FF30 000000FF
	v_mov_b32_e32 v43, s56                                     // 0000000059C8: 7E560238
	v_lshrrev_b32_e32 v44, 4, v0                               // 0000000059CC: 20580084
	v_mul_i32_i24_e32 v44, 4, v44                              // 0000000059D0: 0C585884
	s_mul_i32 s56, s7, 16                                      // 0000000059D4: 92389007
	v_add_u32_e32 v44, s56, v44                                // 0000000059D8: 68585838
	v_add_u32_e32 v45, 1, v44                                  // 0000000059DC: 685A5881
	v_add_u32_e32 v46, 2, v44                                  // 0000000059E0: 685C5882
	v_add_u32_e32 v47, 3, v44                                  // 0000000059E4: 685E5883
	v_cmp_lt_u32_e64 s[32:33], v44, v43                        // 0000000059E8: D0C90020 0002572C
	v_add_u32_e32 v44, 64, v44                                 // 0000000059F0: 685858C0
	s_nop 0                                                    // 0000000059F4: BF800000
	v_cndmask_b32_e64 v88, v11, v88, s[32:33]                  // 0000000059F8: D1000058 0082B10B
	v_cmp_lt_u32_e64 s[32:33], v45, v43                        // 000000005A00: D0C90020 0002572D
	v_add_u32_e32 v45, 64, v45                                 // 000000005A08: 685A5AC0
	s_nop 0                                                    // 000000005A0C: BF800000
	v_cndmask_b32_e64 v89, v11, v89, s[32:33]                  // 000000005A10: D1000059 0082B30B
	v_cmp_lt_u32_e64 s[32:33], v46, v43                        // 000000005A18: D0C90020 0002572E
	v_add_u32_e32 v46, 64, v46                                 // 000000005A20: 685C5CC0
	s_nop 0                                                    // 000000005A24: BF800000
	v_cndmask_b32_e64 v90, v11, v90, s[32:33]                  // 000000005A28: D100005A 0082B50B
	v_cmp_lt_u32_e64 s[32:33], v47, v43                        // 000000005A30: D0C90020 0002572F
	v_add_u32_e32 v47, 64, v47                                 // 000000005A38: 685E5EC0
	s_nop 0                                                    // 000000005A3C: BF800000
	v_cndmask_b32_e64 v91, v11, v91, s[32:33]                  // 000000005A40: D100005B 0082B70B
	s_nop 8                                                    // 000000005A48: BF800008
	v_mov_b32_e32 v8, v88                                      // 000000005A4C: 7E100358
	v_max3_f32 v8, v88, v89, v8                                // 000000005A50: D1D30008 0422B358
	v_max3_f32 v8, v90, v91, v8                                // 000000005A58: D1D30008 0422B75A
	ds_write_b32 v5, v8 offset:41600                           // 000000005A60: D81AA280 00000805
	s_waitcnt lgkmcnt(0)                                       // 000000005A68: BF8CC07F
	s_barrier                                                  // 000000005A6C: BF8A0000
	ds_read_b32 v56, v4 offset:41600                           // 000000005A70: D86CA280 38000004
	ds_read_b32 v57, v4 offset:41664                           // 000000005A78: D86CA2C0 39000004
	ds_read_b32 v58, v4 offset:41728                           // 000000005A80: D86CA300 3A000004
	ds_read_b32 v59, v4 offset:41792                           // 000000005A88: D86CA340 3B000004
	ds_read_b32 v60, v4 offset:41856                           // 000000005A90: D86CA380 3C000004
	ds_read_b32 v61, v4 offset:41920                           // 000000005A98: D86CA3C0 3D000004
	ds_read_b32 v62, v4 offset:41984                           // 000000005AA0: D86CA400 3E000004
	ds_read_b32 v63, v4 offset:42048                           // 000000005AA8: D86CA440 3F000004
	ds_read_b32 v64, v4 offset:42112                           // 000000005AB0: D86CA480 40000004
	ds_read_b32 v65, v4 offset:42176                           // 000000005AB8: D86CA4C0 41000004
	ds_read_b32 v66, v4 offset:42240                           // 000000005AC0: D86CA500 42000004
	ds_read_b32 v67, v4 offset:42304                           // 000000005AC8: D86CA540 43000004
	ds_read_b32 v68, v4 offset:42368                           // 000000005AD0: D86CA580 44000004
	ds_read_b32 v69, v4 offset:42432                           // 000000005AD8: D86CA5C0 45000004
	ds_read_b32 v70, v4 offset:42496                           // 000000005AE0: D86CA600 46000004
	ds_read_b32 v71, v4 offset:42560                           // 000000005AE8: D86CA640 47000004
	s_waitcnt lgkmcnt(0)                                       // 000000005AF0: BF8CC07F
	v_max3_f32 v8, v56, v57, v8                                // 000000005AF4: D1D30008 04227338
	v_max3_f32 v8, v58, v59, v8                                // 000000005AFC: D1D30008 0422773A
	v_max3_f32 v8, v60, v61, v8                                // 000000005B04: D1D30008 04227B3C
	v_max3_f32 v8, v62, v63, v8                                // 000000005B0C: D1D30008 04227F3E
	v_max3_f32 v8, v64, v65, v8                                // 000000005B14: D1D30008 04228340
	v_max3_f32 v8, v66, v67, v8                                // 000000005B1C: D1D30008 04228742
	v_max3_f32 v8, v68, v69, v8                                // 000000005B24: D1D30008 04228B44
	v_max3_f32 v8, v70, v71, v8                                // 000000005B2C: D1D30008 04228F46
	v_cmp_eq_u32_e64 s[32:33], v11, v12                        // 000000005B34: D0CA0020 0002190B
	v_max_f32_e32 v13, v8, v12                                 // 000000005B3C: 161A1908
	v_sub_f32_e32 v18, v12, v13                                // 000000005B40: 04241B0C
	v_cndmask_b32_e64 v18, v18, 0, s[32:33]                    // 000000005B44: D1000012 00810112
	v_mov_b32_e32 v12, v13                                     // 000000005B4C: 7E18030D
	v_mul_f32_e32 v9, s5, v13                                  // 000000005B50: 0A121A05
	v_mul_f32_e32 v18, s5, v18                                 // 000000005B54: 0A242405
	v_exp_f32_e32 v18, v18                                     // 000000005B58: 7E244112
	v_fma_f32 v88, v88, s5, -v9                                // 000000005B5C: D1CB0058 84240B58
	v_fma_f32 v89, v89, s5, -v9                                // 000000005B64: D1CB0059 84240B59
	v_fma_f32 v90, v90, s5, -v9                                // 000000005B6C: D1CB005A 84240B5A
	v_fma_f32 v91, v91, s5, -v9                                // 000000005B74: D1CB005B 84240B5B
	v_exp_f32_e32 v88, v88                                     // 000000005B7C: 7EB04158
	v_exp_f32_e32 v89, v89                                     // 000000005B80: 7EB24159
	v_exp_f32_e32 v90, v90                                     // 000000005B84: 7EB4415A
	v_exp_f32_e32 v91, v91                                     // 000000005B88: 7EB6415B
	v_mul_f32_e32 v14, v18, v14                                // 000000005B8C: 0A1C1D12
	v_mov_b32_e32 v15, v88                                     // 000000005B90: 7E1E0358
	v_add_f32_e32 v15, v89, v15                                // 000000005B94: 021E1F59
	v_add_f32_e32 v15, v90, v15                                // 000000005B98: 021E1F5A
	v_add_f32_e32 v15, v91, v15                                // 000000005B9C: 021E1F5B
	v_add_f32_e32 v14, v15, v14                                // 000000005BA0: 021C1D0F
	v_cvt_pk_fp8_f32 v88, v88, v89                             // 000000005BA4: D2A20058 0002B358
	s_nop 1                                                    // 000000005BAC: BF800001
	v_cvt_pk_fp8_f32 v88, v90, v91 op_sel:[0,0,1]              // 000000005BB0: D2A24058 0002B75A
	ds_write_b32 v7, v88 offset:42624                          // 000000005BB8: D81AA680 00005807
	s_waitcnt lgkmcnt(0)                                       // 000000005BC0: BF8CC07F
	s_barrier                                                  // 000000005BC4: BF8A0000
	ds_read_b32 v88, v6 offset:42624                           // 000000005BC8: D86CA680 58000006
	ds_read_b32 v89, v6 offset:42688                           // 000000005BD0: D86CA6C0 59000006
	ds_read_b32 v90, v6 offset:43136                           // 000000005BD8: D86CA880 5A000006
	ds_read_b32 v91, v6 offset:43200                           // 000000005BE0: D86CA8C0 5B000006
	v_mul_u32_u24_dpp v40, v25, v10 row_newbcast:0 row_mask:0xf bank_mask:0xf// 000000005BE8: 105014FA FF015019
	v_mul_u32_u24_dpp v41, v25, v10 row_newbcast:1 row_mask:0xf bank_mask:0xf// 000000005BF0: 105214FA FF015119
	v_mul_u32_u24_dpp v42, v25, v10 row_newbcast:2 row_mask:0xf bank_mask:0xf// 000000005BF8: 105414FA FF015219
	v_mul_u32_u24_dpp v43, v25, v10 row_newbcast:3 row_mask:0xf bank_mask:0xf// 000000005C00: 105614FA FF015319
	v_mul_u32_u24_dpp v44, v25, v10 row_newbcast:4 row_mask:0xf bank_mask:0xf// 000000005C08: 105814FA FF015419
	v_mul_u32_u24_dpp v45, v25, v10 row_newbcast:5 row_mask:0xf bank_mask:0xf// 000000005C10: 105A14FA FF015519
	v_mul_u32_u24_dpp v46, v25, v10 row_newbcast:6 row_mask:0xf bank_mask:0xf// 000000005C18: 105C14FA FF015619
	v_mul_u32_u24_dpp v47, v25, v10 row_newbcast:7 row_mask:0xf bank_mask:0xf// 000000005C20: 105E14FA FF015719
	v_mul_u32_u24_dpp v48, v25, v10 row_newbcast:8 row_mask:0xf bank_mask:0xf// 000000005C28: 106014FA FF015819
	v_mul_u32_u24_dpp v49, v25, v10 row_newbcast:9 row_mask:0xf bank_mask:0xf// 000000005C30: 106214FA FF015919
	v_mul_u32_u24_dpp v50, v25, v10 row_newbcast:10 row_mask:0xf bank_mask:0xf// 000000005C38: 106414FA FF015A19
	v_mul_u32_u24_dpp v51, v25, v10 row_newbcast:11 row_mask:0xf bank_mask:0xf// 000000005C40: 106614FA FF015B19
	v_mul_u32_u24_dpp v52, v25, v10 row_newbcast:12 row_mask:0xf bank_mask:0xf// 000000005C48: 106814FA FF015C19
	v_mul_u32_u24_dpp v53, v25, v10 row_newbcast:13 row_mask:0xf bank_mask:0xf// 000000005C50: 106A14FA FF015D19
	v_mul_u32_u24_dpp v54, v25, v10 row_newbcast:14 row_mask:0xf bank_mask:0xf// 000000005C58: 106C14FA FF015E19
	v_mul_u32_u24_dpp v55, v25, v10 row_newbcast:15 row_mask:0xf bank_mask:0xf// 000000005C60: 106E14FA FF015F19
	s_mov_b32 s56, m0                                          // 000000005C68: BEB8007C
	s_set_gpr_idx_on s51, gpr_idx(SRC0)                        // 000000005C6C: BF110133
	v_add_u32_e32 v36, v40, v3                                 // 000000005C70: 68480728
	v_add_u32_e32 v37, v41, v3                                 // 000000005C74: 684A0729
	v_add_u32_e32 v38, v42, v3                                 // 000000005C78: 684C072A
	v_add_u32_e32 v39, v43, v3                                 // 000000005C7C: 684E072B
	s_set_gpr_idx_off                                          // 000000005C80: BF9C0000
	s_mov_b32 m0, s56                                          // 000000005C84: BEFC0038
	v_add_u32_e32 v40, v40, v2                                 // 000000005C88: 68500528
	v_add_u32_e32 v41, v41, v2                                 // 000000005C8C: 68520529
	v_add_u32_e32 v42, v42, v2                                 // 000000005C90: 6854052A
	v_add_u32_e32 v43, v43, v2                                 // 000000005C94: 6856052B
	v_add_u32_e32 v44, v44, v2                                 // 000000005C98: 6858052C
	v_add_u32_e32 v45, v45, v2                                 // 000000005C9C: 685A052D
	v_add_u32_e32 v46, v46, v2                                 // 000000005CA0: 685C052E
	v_add_u32_e32 v47, v47, v2                                 // 000000005CA4: 685E052F
	v_add_u32_e32 v48, v48, v2                                 // 000000005CA8: 68600530
	v_add_u32_e32 v49, v49, v2                                 // 000000005CAC: 68620531
	v_add_u32_e32 v50, v50, v2                                 // 000000005CB0: 68640532
	v_add_u32_e32 v51, v51, v2                                 // 000000005CB4: 68660533
	v_add_u32_e32 v52, v52, v2                                 // 000000005CB8: 68680534
	v_add_u32_e32 v53, v53, v2                                 // 000000005CBC: 686A0535
	v_add_u32_e32 v54, v54, v2                                 // 000000005CC0: 686C0536
	v_add_u32_e32 v55, v55, v2                                 // 000000005CC4: 686E0537
	s_waitcnt lgkmcnt(0)                                       // 000000005CC8: BF8CC07F
	v_mul_f32_e32 v92, v18, v92                                // 000000005CCC: 0AB8B912
	v_mul_f32_e32 v93, v18, v93                                // 000000005CD0: 0ABABB12
	v_mul_f32_e32 v94, v18, v94                                // 000000005CD4: 0ABCBD12
	v_mul_f32_e32 v95, v18, v95                                // 000000005CD8: 0ABEBF12
	v_mul_f32_e32 v96, v18, v96                                // 000000005CDC: 0AC0C112
	v_mul_f32_e32 v97, v18, v97                                // 000000005CE0: 0AC2C312
	v_mul_f32_e32 v98, v18, v98                                // 000000005CE4: 0AC4C512
	v_mul_f32_e32 v99, v18, v99                                // 000000005CE8: 0AC6C712
	v_mul_f32_e32 v100, v18, v100                              // 000000005CEC: 0AC8C912
	v_mul_f32_e32 v101, v18, v101                              // 000000005CF0: 0ACACB12
	v_mul_f32_e32 v102, v18, v102                              // 000000005CF4: 0ACCCD12
	v_mul_f32_e32 v103, v18, v103                              // 000000005CF8: 0ACECF12
	v_mul_f32_e32 v104, v18, v104                              // 000000005CFC: 0AD0D112
	v_mul_f32_e32 v105, v18, v105                              // 000000005D00: 0AD2D312
	v_mul_f32_e32 v106, v18, v106                              // 000000005D04: 0AD4D512
	v_mul_f32_e32 v107, v18, v107                              // 000000005D08: 0AD6D712
	v_mul_f32_e32 v108, v18, v108                              // 000000005D0C: 0AD8D912
	v_mul_f32_e32 v109, v18, v109                              // 000000005D10: 0ADADB12
	v_mul_f32_e32 v110, v18, v110                              // 000000005D14: 0ADCDD12
	v_mul_f32_e32 v111, v18, v111                              // 000000005D18: 0ADEDF12
	v_mul_f32_e32 v112, v18, v112                              // 000000005D1C: 0AE0E112
	v_mul_f32_e32 v113, v18, v113                              // 000000005D20: 0AE2E312
	v_mul_f32_e32 v114, v18, v114                              // 000000005D24: 0AE4E512
	v_mul_f32_e32 v115, v18, v115                              // 000000005D28: 0AE6E712
	v_mul_f32_e32 v116, v18, v116                              // 000000005D2C: 0AE8E912
	v_mul_f32_e32 v117, v18, v117                              // 000000005D30: 0AEAEB12
	v_mul_f32_e32 v118, v18, v118                              // 000000005D34: 0AECED12
	v_mul_f32_e32 v119, v18, v119                              // 000000005D38: 0AEEEF12
	v_mul_f32_e32 v120, v18, v120                              // 000000005D3C: 0AF0F112
	v_mul_f32_e32 v121, v18, v121                              // 000000005D40: 0AF2F312
	v_mul_f32_e32 v122, v18, v122                              // 000000005D44: 0AF4F512
	v_mul_f32_e32 v123, v18, v123                              // 000000005D48: 0AF6F712
	s_waitcnt vmcnt(0)                                         // 000000005D4C: BF8C0F70
	s_barrier                                                  // 000000005D50: BF8A0000
	v_mfma_f32_16x16x32_fp8_fp8 v[92:95], a[144:145], v[88:89], v[92:95]// 000000005D54: D3F3005C 0D72B190
	v_mfma_f32_16x16x32_fp8_fp8 v[92:95], a[146:147], v[90:91], v[92:95]// 000000005D5C: D3F3005C 0D72B592
	v_mfma_f32_16x16x32_fp8_fp8 v[96:99], a[152:153], v[88:89], v[96:99]// 000000005D64: D3F30060 0D82B198
	v_mfma_f32_16x16x32_fp8_fp8 v[96:99], a[154:155], v[90:91], v[96:99]// 000000005D6C: D3F30060 0D82B59A
	v_mfma_f32_16x16x32_fp8_fp8 v[100:103], a[160:161], v[88:89], v[100:103]// 000000005D74: D3F30064 0D92B1A0
	v_mfma_f32_16x16x32_fp8_fp8 v[100:103], a[162:163], v[90:91], v[100:103]// 000000005D7C: D3F30064 0D92B5A2
	v_mfma_f32_16x16x32_fp8_fp8 v[104:107], a[168:169], v[88:89], v[104:107]// 000000005D84: D3F30068 0DA2B1A8
	v_mfma_f32_16x16x32_fp8_fp8 v[104:107], a[170:171], v[90:91], v[104:107]// 000000005D8C: D3F30068 0DA2B5AA
	v_mfma_f32_16x16x32_fp8_fp8 v[108:111], a[176:177], v[88:89], v[108:111]// 000000005D94: D3F3006C 0DB2B1B0
	v_mfma_f32_16x16x32_fp8_fp8 v[108:111], a[178:179], v[90:91], v[108:111]// 000000005D9C: D3F3006C 0DB2B5B2
	v_mfma_f32_16x16x32_fp8_fp8 v[112:115], a[184:185], v[88:89], v[112:115]// 000000005DA4: D3F30070 0DC2B1B8
	v_mfma_f32_16x16x32_fp8_fp8 v[112:115], a[186:187], v[90:91], v[112:115]// 000000005DAC: D3F30070 0DC2B5BA
	v_mfma_f32_16x16x32_fp8_fp8 v[116:119], a[192:193], v[88:89], v[116:119]// 000000005DB4: D3F30074 0DD2B1C0
	v_mfma_f32_16x16x32_fp8_fp8 v[116:119], a[194:195], v[90:91], v[116:119]// 000000005DBC: D3F30074 0DD2B5C2
	v_mfma_f32_16x16x32_fp8_fp8 v[120:123], a[200:201], v[88:89], v[120:123]// 000000005DC4: D3F30078 0DE2B1C8
	v_mfma_f32_16x16x32_fp8_fp8 v[120:123], a[202:203], v[90:91], v[120:123]// 000000005DCC: D3F30078 0DE2B5CA
	s_nop 8                                                    // 000000005DD4: BF800008
	s_branch label_tail_exit                                   // 000000005DD8: BF82012E

0000000000005ddc <label_tail_loop_1>:
	s_waitcnt vmcnt(0) expcnt(0) lgkmcnt(0)                    // 000000005DDC: BF8C0000
	s_barrier                                                  // 000000005DE0: BF8A0000
	v_mfma_f32_16x16x32_fp8_fp8 v[88:91], a[72:73], a[0:1], 0  // 000000005DE4: D3F30058 1A020148
	v_mfma_f32_16x16x32_fp8_fp8 v[88:91], a[74:75], a[2:3], v[88:91]// 000000005DEC: D3F30058 1D62054A
	v_mfma_f32_16x16x32_fp8_fp8 v[88:91], a[76:77], a[4:5], v[88:91]// 000000005DF4: D3F30058 1D62094C
	v_mfma_f32_16x16x32_fp8_fp8 v[88:91], a[78:79], a[6:7], v[88:91]// 000000005DFC: D3F30058 1D620D4E
	v_mfma_f32_16x16x32_fp8_fp8 v[88:91], a[80:81], a[8:9], v[88:91]// 000000005E04: D3F30058 1D621150
	v_mfma_f32_16x16x32_fp8_fp8 v[88:91], a[82:83], a[10:11], v[88:91]// 000000005E0C: D3F30058 1D621552
	v_mfma_f32_16x16x32_fp8_fp8 v[88:91], a[84:85], a[12:13], v[88:91]// 000000005E14: D3F30058 1D621954
	v_mfma_f32_16x16x32_fp8_fp8 v[88:91], a[86:87], a[14:15], v[88:91]// 000000005E1C: D3F30058 1D621D56
	v_mfma_f32_16x16x32_fp8_fp8 v[88:91], a[88:89], a[16:17], v[88:91]// 000000005E24: D3F30058 1D622158
	v_mfma_f32_16x16x32_fp8_fp8 v[88:91], a[90:91], a[18:19], v[88:91]// 000000005E2C: D3F30058 1D62255A
	v_mfma_f32_16x16x32_fp8_fp8 v[88:91], a[92:93], a[20:21], v[88:91]// 000000005E34: D3F30058 1D62295C
	v_mfma_f32_16x16x32_fp8_fp8 v[88:91], a[94:95], a[22:23], v[88:91]// 000000005E3C: D3F30058 1D622D5E
	v_mfma_f32_16x16x32_fp8_fp8 v[88:91], a[96:97], a[24:25], v[88:91]// 000000005E44: D3F30058 1D623160
	v_mfma_f32_16x16x32_fp8_fp8 v[88:91], a[98:99], a[26:27], v[88:91]// 000000005E4C: D3F30058 1D623562
	v_mfma_f32_16x16x32_fp8_fp8 v[88:91], a[100:101], a[28:29], v[88:91]// 000000005E54: D3F30058 1D623964
	v_mfma_f32_16x16x32_fp8_fp8 v[88:91], a[102:103], a[30:31], v[88:91]// 000000005E5C: D3F30058 1D623D66
	v_mfma_f32_16x16x32_fp8_fp8 v[88:91], a[104:105], a[32:33], v[88:91]// 000000005E64: D3F30058 1D624168
	v_mfma_f32_16x16x32_fp8_fp8 v[88:91], a[106:107], a[34:35], v[88:91]// 000000005E6C: D3F30058 1D62456A
	s_nop 8                                                    // 000000005E74: BF800008
	s_and_b32 s56, s48, 0xff                                   // 000000005E78: 8638FF30 000000FF
	v_mov_b32_e32 v43, s56                                     // 000000005E80: 7E560238
	v_lshrrev_b32_e32 v44, 4, v0                               // 000000005E84: 20580084
	v_mul_i32_i24_e32 v44, 4, v44                              // 000000005E88: 0C585884
	s_mul_i32 s56, s7, 16                                      // 000000005E8C: 92389007
	v_add_u32_e32 v44, s56, v44                                // 000000005E90: 68585838
	v_add_u32_e32 v45, 1, v44                                  // 000000005E94: 685A5881
	v_add_u32_e32 v46, 2, v44                                  // 000000005E98: 685C5882
	v_add_u32_e32 v47, 3, v44                                  // 000000005E9C: 685E5883
	v_cmp_lt_u32_e64 s[32:33], v44, v43                        // 000000005EA0: D0C90020 0002572C
	v_add_u32_e32 v44, 64, v44                                 // 000000005EA8: 685858C0
	s_nop 0                                                    // 000000005EAC: BF800000
	v_cndmask_b32_e64 v88, v11, v88, s[32:33]                  // 000000005EB0: D1000058 0082B10B
	v_cmp_lt_u32_e64 s[32:33], v45, v43                        // 000000005EB8: D0C90020 0002572D
	v_add_u32_e32 v45, 64, v45                                 // 000000005EC0: 685A5AC0
	s_nop 0                                                    // 000000005EC4: BF800000
	v_cndmask_b32_e64 v89, v11, v89, s[32:33]                  // 000000005EC8: D1000059 0082B30B
	v_cmp_lt_u32_e64 s[32:33], v46, v43                        // 000000005ED0: D0C90020 0002572E
	v_add_u32_e32 v46, 64, v46                                 // 000000005ED8: 685C5CC0
	s_nop 0                                                    // 000000005EDC: BF800000
	v_cndmask_b32_e64 v90, v11, v90, s[32:33]                  // 000000005EE0: D100005A 0082B50B
	v_cmp_lt_u32_e64 s[32:33], v47, v43                        // 000000005EE8: D0C90020 0002572F
	v_add_u32_e32 v47, 64, v47                                 // 000000005EF0: 685E5EC0
	s_nop 0                                                    // 000000005EF4: BF800000
	v_cndmask_b32_e64 v91, v11, v91, s[32:33]                  // 000000005EF8: D100005B 0082B70B
	s_nop 8                                                    // 000000005F00: BF800008
	v_mov_b32_e32 v8, v88                                      // 000000005F04: 7E100358
	v_max3_f32 v8, v88, v89, v8                                // 000000005F08: D1D30008 0422B358
	v_max3_f32 v8, v90, v91, v8                                // 000000005F10: D1D30008 0422B75A
	ds_write_b32 v5, v8 offset:41600                           // 000000005F18: D81AA280 00000805
	s_waitcnt lgkmcnt(0)                                       // 000000005F20: BF8CC07F
	s_barrier                                                  // 000000005F24: BF8A0000
	ds_read_b32 v56, v4 offset:41600                           // 000000005F28: D86CA280 38000004
	ds_read_b32 v57, v4 offset:41664                           // 000000005F30: D86CA2C0 39000004
	ds_read_b32 v58, v4 offset:41728                           // 000000005F38: D86CA300 3A000004
	ds_read_b32 v59, v4 offset:41792                           // 000000005F40: D86CA340 3B000004
	ds_read_b32 v60, v4 offset:41856                           // 000000005F48: D86CA380 3C000004
	ds_read_b32 v61, v4 offset:41920                           // 000000005F50: D86CA3C0 3D000004
	ds_read_b32 v62, v4 offset:41984                           // 000000005F58: D86CA400 3E000004
	ds_read_b32 v63, v4 offset:42048                           // 000000005F60: D86CA440 3F000004
	ds_read_b32 v64, v4 offset:42112                           // 000000005F68: D86CA480 40000004
	ds_read_b32 v65, v4 offset:42176                           // 000000005F70: D86CA4C0 41000004
	ds_read_b32 v66, v4 offset:42240                           // 000000005F78: D86CA500 42000004
	ds_read_b32 v67, v4 offset:42304                           // 000000005F80: D86CA540 43000004
	ds_read_b32 v68, v4 offset:42368                           // 000000005F88: D86CA580 44000004
	ds_read_b32 v69, v4 offset:42432                           // 000000005F90: D86CA5C0 45000004
	ds_read_b32 v70, v4 offset:42496                           // 000000005F98: D86CA600 46000004
	ds_read_b32 v71, v4 offset:42560                           // 000000005FA0: D86CA640 47000004
	s_waitcnt lgkmcnt(0)                                       // 000000005FA8: BF8CC07F
	v_max3_f32 v8, v56, v57, v8                                // 000000005FAC: D1D30008 04227338
	v_max3_f32 v8, v58, v59, v8                                // 000000005FB4: D1D30008 0422773A
	v_max3_f32 v8, v60, v61, v8                                // 000000005FBC: D1D30008 04227B3C
	v_max3_f32 v8, v62, v63, v8                                // 000000005FC4: D1D30008 04227F3E
	v_max3_f32 v8, v64, v65, v8                                // 000000005FCC: D1D30008 04228340
	v_max3_f32 v8, v66, v67, v8                                // 000000005FD4: D1D30008 04228742
	v_max3_f32 v8, v68, v69, v8                                // 000000005FDC: D1D30008 04228B44
	v_max3_f32 v8, v70, v71, v8                                // 000000005FE4: D1D30008 04228F46
	v_cmp_eq_u32_e64 s[32:33], v11, v12                        // 000000005FEC: D0CA0020 0002190B
	v_max_f32_e32 v13, v8, v12                                 // 000000005FF4: 161A1908
	v_sub_f32_e32 v18, v12, v13                                // 000000005FF8: 04241B0C
	v_cndmask_b32_e64 v18, v18, 0, s[32:33]                    // 000000005FFC: D1000012 00810112
	v_mov_b32_e32 v12, v13                                     // 000000006004: 7E18030D
	v_mul_f32_e32 v9, s5, v13                                  // 000000006008: 0A121A05
	v_mul_f32_e32 v18, s5, v18                                 // 00000000600C: 0A242405
	v_exp_f32_e32 v18, v18                                     // 000000006010: 7E244112
	v_fma_f32 v88, v88, s5, -v9                                // 000000006014: D1CB0058 84240B58
	v_fma_f32 v89, v89, s5, -v9                                // 00000000601C: D1CB0059 84240B59
	v_fma_f32 v90, v90, s5, -v9                                // 000000006024: D1CB005A 84240B5A
	v_fma_f32 v91, v91, s5, -v9                                // 00000000602C: D1CB005B 84240B5B
	v_exp_f32_e32 v88, v88                                     // 000000006034: 7EB04158
	v_exp_f32_e32 v89, v89                                     // 000000006038: 7EB24159
	v_exp_f32_e32 v90, v90                                     // 00000000603C: 7EB4415A
	v_exp_f32_e32 v91, v91                                     // 000000006040: 7EB6415B
	v_mul_f32_e32 v14, v18, v14                                // 000000006044: 0A1C1D12
	v_mov_b32_e32 v15, v88                                     // 000000006048: 7E1E0358
	v_add_f32_e32 v15, v89, v15                                // 00000000604C: 021E1F59
	v_add_f32_e32 v15, v90, v15                                // 000000006050: 021E1F5A
	v_add_f32_e32 v15, v91, v15                                // 000000006054: 021E1F5B
	v_add_f32_e32 v14, v15, v14                                // 000000006058: 021C1D0F
	v_cvt_pk_fp8_f32 v88, v88, v89                             // 00000000605C: D2A20058 0002B358
	s_nop 1                                                    // 000000006064: BF800001
	v_cvt_pk_fp8_f32 v88, v90, v91 op_sel:[0,0,1]              // 000000006068: D2A24058 0002B75A
	ds_write_b32 v7, v88 offset:42624                          // 000000006070: D81AA680 00005807
	s_waitcnt lgkmcnt(0)                                       // 000000006078: BF8CC07F
	s_barrier                                                  // 00000000607C: BF8A0000
	ds_read_b32 v88, v6 offset:42624                           // 000000006080: D86CA680 58000006
	ds_read_b32 v89, v6 offset:42688                           // 000000006088: D86CA6C0 59000006
	ds_read_b32 v90, v6 offset:43136                           // 000000006090: D86CA880 5A000006
	ds_read_b32 v91, v6 offset:43200                           // 000000006098: D86CA8C0 5B000006
	v_mul_u32_u24_dpp v40, v24, v10 row_newbcast:0 row_mask:0xf bank_mask:0xf// 0000000060A0: 105014FA FF015018
	v_mul_u32_u24_dpp v41, v24, v10 row_newbcast:1 row_mask:0xf bank_mask:0xf// 0000000060A8: 105214FA FF015118
	v_mul_u32_u24_dpp v42, v24, v10 row_newbcast:2 row_mask:0xf bank_mask:0xf// 0000000060B0: 105414FA FF015218
	v_mul_u32_u24_dpp v43, v24, v10 row_newbcast:3 row_mask:0xf bank_mask:0xf// 0000000060B8: 105614FA FF015318
	v_mul_u32_u24_dpp v44, v24, v10 row_newbcast:4 row_mask:0xf bank_mask:0xf// 0000000060C0: 105814FA FF015418
	v_mul_u32_u24_dpp v45, v24, v10 row_newbcast:5 row_mask:0xf bank_mask:0xf// 0000000060C8: 105A14FA FF015518
	v_mul_u32_u24_dpp v46, v24, v10 row_newbcast:6 row_mask:0xf bank_mask:0xf// 0000000060D0: 105C14FA FF015618
	v_mul_u32_u24_dpp v47, v24, v10 row_newbcast:7 row_mask:0xf bank_mask:0xf// 0000000060D8: 105E14FA FF015718
	v_mul_u32_u24_dpp v48, v24, v10 row_newbcast:8 row_mask:0xf bank_mask:0xf// 0000000060E0: 106014FA FF015818
	v_mul_u32_u24_dpp v49, v24, v10 row_newbcast:9 row_mask:0xf bank_mask:0xf// 0000000060E8: 106214FA FF015918
	v_mul_u32_u24_dpp v50, v24, v10 row_newbcast:10 row_mask:0xf bank_mask:0xf// 0000000060F0: 106414FA FF015A18
	v_mul_u32_u24_dpp v51, v24, v10 row_newbcast:11 row_mask:0xf bank_mask:0xf// 0000000060F8: 106614FA FF015B18
	v_mul_u32_u24_dpp v52, v24, v10 row_newbcast:12 row_mask:0xf bank_mask:0xf// 000000006100: 106814FA FF015C18
	v_mul_u32_u24_dpp v53, v24, v10 row_newbcast:13 row_mask:0xf bank_mask:0xf// 000000006108: 106A14FA FF015D18
	v_mul_u32_u24_dpp v54, v24, v10 row_newbcast:14 row_mask:0xf bank_mask:0xf// 000000006110: 106C14FA FF015E18
	v_mul_u32_u24_dpp v55, v24, v10 row_newbcast:15 row_mask:0xf bank_mask:0xf// 000000006118: 106E14FA FF015F18
	s_mov_b32 s56, m0                                          // 000000006120: BEB8007C
	s_set_gpr_idx_on s51, gpr_idx(SRC0)                        // 000000006124: BF110133
	v_add_u32_e32 v36, v40, v3                                 // 000000006128: 68480728
	v_add_u32_e32 v37, v41, v3                                 // 00000000612C: 684A0729
	v_add_u32_e32 v38, v42, v3                                 // 000000006130: 684C072A
	v_add_u32_e32 v39, v43, v3                                 // 000000006134: 684E072B
	s_set_gpr_idx_off                                          // 000000006138: BF9C0000
	s_mov_b32 m0, s56                                          // 00000000613C: BEFC0038
	v_add_u32_e32 v40, v40, v2                                 // 000000006140: 68500528
	v_add_u32_e32 v41, v41, v2                                 // 000000006144: 68520529
	v_add_u32_e32 v42, v42, v2                                 // 000000006148: 6854052A
	v_add_u32_e32 v43, v43, v2                                 // 00000000614C: 6856052B
	v_add_u32_e32 v44, v44, v2                                 // 000000006150: 6858052C
	v_add_u32_e32 v45, v45, v2                                 // 000000006154: 685A052D
	v_add_u32_e32 v46, v46, v2                                 // 000000006158: 685C052E
	v_add_u32_e32 v47, v47, v2                                 // 00000000615C: 685E052F
	v_add_u32_e32 v48, v48, v2                                 // 000000006160: 68600530
	v_add_u32_e32 v49, v49, v2                                 // 000000006164: 68620531
	;; [unrolled: 1-line block ×3, first 2 shown]
	v_add_u32_e32 v51, v51, v2                                 // 00000000616C: 68660533
	v_add_u32_e32 v52, v52, v2                                 // 000000006170: 68680534
	v_add_u32_e32 v53, v53, v2                                 // 000000006174: 686A0535
	v_add_u32_e32 v54, v54, v2                                 // 000000006178: 686C0536
	v_add_u32_e32 v55, v55, v2                                 // 00000000617C: 686E0537
	s_waitcnt lgkmcnt(0)                                       // 000000006180: BF8CC07F
	v_mul_f32_e32 v92, v18, v92                                // 000000006184: 0AB8B912
	v_mul_f32_e32 v93, v18, v93                                // 000000006188: 0ABABB12
	v_mul_f32_e32 v94, v18, v94                                // 00000000618C: 0ABCBD12
	v_mul_f32_e32 v95, v18, v95                                // 000000006190: 0ABEBF12
	v_mul_f32_e32 v96, v18, v96                                // 000000006194: 0AC0C112
	v_mul_f32_e32 v97, v18, v97                                // 000000006198: 0AC2C312
	v_mul_f32_e32 v98, v18, v98                                // 00000000619C: 0AC4C512
	v_mul_f32_e32 v99, v18, v99                                // 0000000061A0: 0AC6C712
	v_mul_f32_e32 v100, v18, v100                              // 0000000061A4: 0AC8C912
	v_mul_f32_e32 v101, v18, v101                              // 0000000061A8: 0ACACB12
	v_mul_f32_e32 v102, v18, v102                              // 0000000061AC: 0ACCCD12
	v_mul_f32_e32 v103, v18, v103                              // 0000000061B0: 0ACECF12
	v_mul_f32_e32 v104, v18, v104                              // 0000000061B4: 0AD0D112
	v_mul_f32_e32 v105, v18, v105                              // 0000000061B8: 0AD2D312
	v_mul_f32_e32 v106, v18, v106                              // 0000000061BC: 0AD4D512
	v_mul_f32_e32 v107, v18, v107                              // 0000000061C0: 0AD6D712
	v_mul_f32_e32 v108, v18, v108                              // 0000000061C4: 0AD8D912
	v_mul_f32_e32 v109, v18, v109                              // 0000000061C8: 0ADADB12
	v_mul_f32_e32 v110, v18, v110                              // 0000000061CC: 0ADCDD12
	v_mul_f32_e32 v111, v18, v111                              // 0000000061D0: 0ADEDF12
	v_mul_f32_e32 v112, v18, v112                              // 0000000061D4: 0AE0E112
	v_mul_f32_e32 v113, v18, v113                              // 0000000061D8: 0AE2E312
	v_mul_f32_e32 v114, v18, v114                              // 0000000061DC: 0AE4E512
	v_mul_f32_e32 v115, v18, v115                              // 0000000061E0: 0AE6E712
	v_mul_f32_e32 v116, v18, v116                              // 0000000061E4: 0AE8E912
	v_mul_f32_e32 v117, v18, v117                              // 0000000061E8: 0AEAEB12
	v_mul_f32_e32 v118, v18, v118                              // 0000000061EC: 0AECED12
	v_mul_f32_e32 v119, v18, v119                              // 0000000061F0: 0AEEEF12
	v_mul_f32_e32 v120, v18, v120                              // 0000000061F4: 0AF0F112
	v_mul_f32_e32 v121, v18, v121                              // 0000000061F8: 0AF2F312
	v_mul_f32_e32 v122, v18, v122                              // 0000000061FC: 0AF4F512
	v_mul_f32_e32 v123, v18, v123                              // 000000006200: 0AF6F712
	s_waitcnt vmcnt(0)                                         // 000000006204: BF8C0F70
	s_barrier                                                  // 000000006208: BF8A0000
	v_mfma_f32_16x16x32_fp8_fp8 v[92:95], a[144:145], v[88:89], v[92:95]// 00000000620C: D3F3005C 0D72B190
	v_mfma_f32_16x16x32_fp8_fp8 v[92:95], a[146:147], v[90:91], v[92:95]// 000000006214: D3F3005C 0D72B592
	v_mfma_f32_16x16x32_fp8_fp8 v[96:99], a[152:153], v[88:89], v[96:99]// 00000000621C: D3F30060 0D82B198
	v_mfma_f32_16x16x32_fp8_fp8 v[96:99], a[154:155], v[90:91], v[96:99]// 000000006224: D3F30060 0D82B59A
	v_mfma_f32_16x16x32_fp8_fp8 v[100:103], a[160:161], v[88:89], v[100:103]// 00000000622C: D3F30064 0D92B1A0
	v_mfma_f32_16x16x32_fp8_fp8 v[100:103], a[162:163], v[90:91], v[100:103]// 000000006234: D3F30064 0D92B5A2
	v_mfma_f32_16x16x32_fp8_fp8 v[104:107], a[168:169], v[88:89], v[104:107]// 00000000623C: D3F30068 0DA2B1A8
	v_mfma_f32_16x16x32_fp8_fp8 v[104:107], a[170:171], v[90:91], v[104:107]// 000000006244: D3F30068 0DA2B5AA
	v_mfma_f32_16x16x32_fp8_fp8 v[108:111], a[176:177], v[88:89], v[108:111]// 00000000624C: D3F3006C 0DB2B1B0
	v_mfma_f32_16x16x32_fp8_fp8 v[108:111], a[178:179], v[90:91], v[108:111]// 000000006254: D3F3006C 0DB2B5B2
	v_mfma_f32_16x16x32_fp8_fp8 v[112:115], a[184:185], v[88:89], v[112:115]// 00000000625C: D3F30070 0DC2B1B8
	v_mfma_f32_16x16x32_fp8_fp8 v[112:115], a[186:187], v[90:91], v[112:115]// 000000006264: D3F30070 0DC2B5BA
	v_mfma_f32_16x16x32_fp8_fp8 v[116:119], a[192:193], v[88:89], v[116:119]// 00000000626C: D3F30074 0DD2B1C0
	v_mfma_f32_16x16x32_fp8_fp8 v[116:119], a[194:195], v[90:91], v[116:119]// 000000006274: D3F30074 0DD2B5C2
	v_mfma_f32_16x16x32_fp8_fp8 v[120:123], a[200:201], v[88:89], v[120:123]// 00000000627C: D3F30078 0DE2B1C8
	v_mfma_f32_16x16x32_fp8_fp8 v[120:123], a[202:203], v[90:91], v[120:123]// 000000006284: D3F30078 0DE2B5CA
	s_nop 8                                                    // 00000000628C: BF800008
	s_branch label_tail_exit                                   // 000000006290: BF820000

0000000000006294 <label_tail_exit>:
	ds_write_b32 v5, v14 offset:41600                          // 000000006294: D81AA280 00000E05
	s_waitcnt lgkmcnt(0)                                       // 00000000629C: BF8CC07F
	s_barrier                                                  // 0000000062A0: BF8A0000
	ds_read_b32 v56, v4 offset:41600                           // 0000000062A4: D86CA280 38000004
	ds_read_b32 v57, v4 offset:41664                           // 0000000062AC: D86CA2C0 39000004
	ds_read_b32 v58, v4 offset:41728                           // 0000000062B4: D86CA300 3A000004
	ds_read_b32 v59, v4 offset:41792                           // 0000000062BC: D86CA340 3B000004
	ds_read_b32 v60, v4 offset:41856                           // 0000000062C4: D86CA380 3C000004
	ds_read_b32 v61, v4 offset:41920                           // 0000000062CC: D86CA3C0 3D000004
	ds_read_b32 v62, v4 offset:41984                           // 0000000062D4: D86CA400 3E000004
	ds_read_b32 v63, v4 offset:42048                           // 0000000062DC: D86CA440 3F000004
	ds_read_b32 v64, v4 offset:42112                           // 0000000062E4: D86CA480 40000004
	ds_read_b32 v65, v4 offset:42176                           // 0000000062EC: D86CA4C0 41000004
	ds_read_b32 v66, v4 offset:42240                           // 0000000062F4: D86CA500 42000004
	ds_read_b32 v67, v4 offset:42304                           // 0000000062FC: D86CA540 43000004
	ds_read_b32 v68, v4 offset:42368                           // 000000006304: D86CA580 44000004
	ds_read_b32 v69, v4 offset:42432                           // 00000000630C: D86CA5C0 45000004
	ds_read_b32 v70, v4 offset:42496                           // 000000006314: D86CA600 46000004
	ds_read_b32 v71, v4 offset:42560                           // 00000000631C: D86CA640 47000004
	s_waitcnt lgkmcnt(0)                                       // 000000006324: BF8CC07F
	v_mov_b32_e32 v14, 0                                       // 000000006328: 7E1C0280
	v_add_f32_e32 v14, v56, v14                                // 00000000632C: 021C1D38
	v_add_f32_e32 v14, v57, v14                                // 000000006330: 021C1D39
	v_add_f32_e32 v14, v58, v14                                // 000000006334: 021C1D3A
	v_add_f32_e32 v14, v59, v14                                // 000000006338: 021C1D3B
	v_add_f32_e32 v14, v60, v14                                // 00000000633C: 021C1D3C
	v_add_f32_e32 v14, v61, v14                                // 000000006340: 021C1D3D
	v_add_f32_e32 v14, v62, v14                                // 000000006344: 021C1D3E
	v_add_f32_e32 v14, v63, v14                                // 000000006348: 021C1D3F
	v_add_f32_e32 v14, v64, v14                                // 00000000634C: 021C1D40
	v_add_f32_e32 v14, v65, v14                                // 000000006350: 021C1D41
	v_add_f32_e32 v14, v66, v14                                // 000000006354: 021C1D42
	v_add_f32_e32 v14, v67, v14                                // 000000006358: 021C1D43
	v_add_f32_e32 v14, v68, v14                                // 00000000635C: 021C1D44
	v_add_f32_e32 v14, v69, v14                                // 000000006360: 021C1D45
	v_add_f32_e32 v14, v70, v14                                // 000000006364: 021C1D46
	v_add_f32_e32 v14, v71, v14                                // 000000006368: 021C1D47
	v_mul_f32_e64 v32, v12, s64                                // 00000000636C: D1050020 0000810C
	v_log_f32_e32 v33, v14                                     // 000000006374: 7E42430E
	s_nop 1                                                    // 000000006378: BF800001
	v_rcp_f32_e32 v14, v14                                     // 00000000637C: 7E1C450E
	s_nop 1                                                    // 000000006380: BF800001
	v_fma_f32 v42, v33, s63, v32                               // 000000006384: D1CB002A 04807F21
	v_mul_f32_e32 v92, v14, v92                                // 00000000638C: 0AB8B90E
	v_mul_f32_e32 v93, v14, v93                                // 000000006390: 0ABABB0E
	v_mul_f32_e32 v94, v14, v94                                // 000000006394: 0ABCBD0E
	v_mul_f32_e32 v95, v14, v95                                // 000000006398: 0ABEBF0E
	v_mul_f32_e32 v96, v14, v96                                // 00000000639C: 0AC0C10E
	v_mul_f32_e32 v97, v14, v97                                // 0000000063A0: 0AC2C30E
	v_mul_f32_e32 v98, v14, v98                                // 0000000063A4: 0AC4C50E
	v_mul_f32_e32 v99, v14, v99                                // 0000000063A8: 0AC6C70E
	v_mul_f32_e32 v100, v14, v100                              // 0000000063AC: 0AC8C90E
	v_mul_f32_e32 v101, v14, v101                              // 0000000063B0: 0ACACB0E
	v_mul_f32_e32 v102, v14, v102                              // 0000000063B4: 0ACCCD0E
	v_mul_f32_e32 v103, v14, v103                              // 0000000063B8: 0ACECF0E
	v_mul_f32_e32 v104, v14, v104                              // 0000000063BC: 0AD0D10E
	v_mul_f32_e32 v105, v14, v105                              // 0000000063C0: 0AD2D30E
	v_mul_f32_e32 v106, v14, v106                              // 0000000063C4: 0AD4D50E
	v_mul_f32_e32 v107, v14, v107                              // 0000000063C8: 0AD6D70E
	v_mul_f32_e32 v108, v14, v108                              // 0000000063CC: 0AD8D90E
	v_mul_f32_e32 v109, v14, v109                              // 0000000063D0: 0ADADB0E
	v_mul_f32_e32 v110, v14, v110                              // 0000000063D4: 0ADCDD0E
	v_mul_f32_e32 v111, v14, v111                              // 0000000063D8: 0ADEDF0E
	v_mul_f32_e32 v112, v14, v112                              // 0000000063DC: 0AE0E10E
	v_mul_f32_e32 v113, v14, v113                              // 0000000063E0: 0AE2E30E
	v_mul_f32_e32 v114, v14, v114                              // 0000000063E4: 0AE4E50E
	v_mul_f32_e32 v115, v14, v115                              // 0000000063E8: 0AE6E70E
	v_mul_f32_e32 v116, v14, v116                              // 0000000063EC: 0AE8E90E
	v_mul_f32_e32 v117, v14, v117                              // 0000000063F0: 0AEAEB0E
	v_mul_f32_e32 v118, v14, v118                              // 0000000063F4: 0AECED0E
	v_mul_f32_e32 v119, v14, v119                              // 0000000063F8: 0AEEEF0E
	v_mul_f32_e32 v120, v14, v120                              // 0000000063FC: 0AF0F10E
	v_mul_f32_e32 v121, v14, v121                              // 000000006400: 0AF2F30E
	v_mul_f32_e32 v122, v14, v122                              // 000000006404: 0AF4F50E
	v_mul_f32_e32 v123, v14, v123                              // 000000006408: 0AF6F70E

000000000000640c <label_R_write_out>:
	s_cmp_eq_u32 s67, 1                                        // 00000000640C: BF068143
	s_cbranch_scc1 label_R_write_out_bf16                      // 000000006410: BF850099
	s_waitcnt lgkmcnt(0)                                       // 000000006414: BF8CC07F
	s_barrier                                                  // 000000006418: BF8A0000
	v_lshlrev_b32_e32 v41, 1, v0                               // 00000000641C: 24520081
	s_mul_i32 s56, s7, 0x820                                   // 000000006420: 9238FF07 00000820
	v_add_u32_e32 v41, s56, v41                                // 000000006428: 68525238
	v_lshlrev_b32_e32 v41, 2, v41                              // 00000000642C: 24525282
	v_mov_b32_e32 v32, v92                                     // 000000006430: 7E40035C
	v_mov_b32_e32 v33, v96                                     // 000000006434: 7E420360
	ds_write_b64 v41, v[32:33]                                 // 000000006438: D89A0000 00002029
	v_mov_b32_e32 v32, v100                                    // 000000006440: 7E400364
	v_mov_b32_e32 v33, v104                                    // 000000006444: 7E420368
	ds_write_b64 v41, v[32:33] offset:520                      // 000000006448: D89A0208 00002029
	v_mov_b32_e32 v32, v108                                    // 000000006450: 7E40036C
	v_mov_b32_e32 v33, v112                                    // 000000006454: 7E420370
	ds_write_b64 v41, v[32:33] offset:1040                     // 000000006458: D89A0410 00002029
	v_mov_b32_e32 v32, v116                                    // 000000006460: 7E400374
	v_mov_b32_e32 v33, v120                                    // 000000006464: 7E420378
	ds_write_b64 v41, v[32:33] offset:1560                     // 000000006468: D89A0618 00002029
	v_mov_b32_e32 v32, v93                                     // 000000006470: 7E40035D
	v_mov_b32_e32 v33, v97                                     // 000000006474: 7E420361
	ds_write_b64 v41, v[32:33] offset:2080                     // 000000006478: D89A0820 00002029
	v_mov_b32_e32 v32, v101                                    // 000000006480: 7E400365
	v_mov_b32_e32 v33, v105                                    // 000000006484: 7E420369
	ds_write_b64 v41, v[32:33] offset:2600                     // 000000006488: D89A0A28 00002029
	v_mov_b32_e32 v32, v109                                    // 000000006490: 7E40036D
	v_mov_b32_e32 v33, v113                                    // 000000006494: 7E420371
	ds_write_b64 v41, v[32:33] offset:3120                     // 000000006498: D89A0C30 00002029
	v_mov_b32_e32 v32, v117                                    // 0000000064A0: 7E400375
	v_mov_b32_e32 v33, v121                                    // 0000000064A4: 7E420379
	ds_write_b64 v41, v[32:33] offset:3640                     // 0000000064A8: D89A0E38 00002029
	v_mov_b32_e32 v32, v94                                     // 0000000064B0: 7E40035E
	v_mov_b32_e32 v33, v98                                     // 0000000064B4: 7E420362
	ds_write_b64 v41, v[32:33] offset:4160                     // 0000000064B8: D89A1040 00002029
	v_mov_b32_e32 v32, v102                                    // 0000000064C0: 7E400366
	v_mov_b32_e32 v33, v106                                    // 0000000064C4: 7E42036A
	ds_write_b64 v41, v[32:33] offset:4680                     // 0000000064C8: D89A1248 00002029
	v_mov_b32_e32 v32, v110                                    // 0000000064D0: 7E40036E
	v_mov_b32_e32 v33, v114                                    // 0000000064D4: 7E420372
	ds_write_b64 v41, v[32:33] offset:5200                     // 0000000064D8: D89A1450 00002029
	v_mov_b32_e32 v32, v118                                    // 0000000064E0: 7E400376
	v_mov_b32_e32 v33, v122                                    // 0000000064E4: 7E42037A
	ds_write_b64 v41, v[32:33] offset:5720                     // 0000000064E8: D89A1658 00002029
	v_mov_b32_e32 v32, v95                                     // 0000000064F0: 7E40035F
	v_mov_b32_e32 v33, v99                                     // 0000000064F4: 7E420363
	ds_write_b64 v41, v[32:33] offset:6240                     // 0000000064F8: D89A1860 00002029
	v_mov_b32_e32 v32, v103                                    // 000000006500: 7E400367
	v_mov_b32_e32 v33, v107                                    // 000000006504: 7E42036B
	ds_write_b64 v41, v[32:33] offset:6760                     // 000000006508: D89A1A68 00002029
	v_mov_b32_e32 v32, v111                                    // 000000006510: 7E40036F
	v_mov_b32_e32 v33, v115                                    // 000000006514: 7E420373
	ds_write_b64 v41, v[32:33] offset:7280                     // 000000006518: D89A1C70 00002029
	v_mov_b32_e32 v32, v119                                    // 000000006520: 7E400377
	v_mov_b32_e32 v33, v123                                    // 000000006524: 7E42037B
	ds_write_b64 v41, v[32:33] offset:7800                     // 000000006528: D89A1E78 00002029
	s_waitcnt lgkmcnt(0)                                       // 000000006530: BF8CC07F
	v_lshrrev_b32_e32 v32, 4, v0                               // 000000006534: 20400084
	v_mul_i32_i24_e32 v41, 32, v32                             // 000000006538: 0C5240A0
	v_and_b32_e32 v32, 15, v0                                  // 00000000653C: 2640008F
	v_mul_i32_i24_e32 v33, 0x82, v32                           // 000000006540: 0C4240FF 00000082
	v_add_u32_e32 v41, v33, v41                                // 000000006548: 68525321
	s_mul_i32 s56, s7, 0x820                                   // 00000000654C: 9238FF07 00000820
	v_add_u32_e32 v41, s56, v41                                // 000000006554: 68525238
	v_lshlrev_b32_e32 v41, 2, v41                              // 000000006558: 24525282
	ds_read_b64 v[92:93], v41                                  // 00000000655C: D8EC0000 5C000029
	ds_read_b64 v[94:95], v41 offset:8                         // 000000006564: D8EC0008 5E000029
	ds_read_b64 v[96:97], v41 offset:16                        // 00000000656C: D8EC0010 60000029
	ds_read_b64 v[98:99], v41 offset:24                        // 000000006574: D8EC0018 62000029
	ds_read_b64 v[100:101], v41 offset:32                      // 00000000657C: D8EC0020 64000029
	ds_read_b64 v[102:103], v41 offset:40                      // 000000006584: D8EC0028 66000029
	ds_read_b64 v[104:105], v41 offset:48                      // 00000000658C: D8EC0030 68000029
	ds_read_b64 v[106:107], v41 offset:56                      // 000000006594: D8EC0038 6A000029
	ds_read_b64 v[108:109], v41 offset:64                      // 00000000659C: D8EC0040 6C000029
	ds_read_b64 v[110:111], v41 offset:72                      // 0000000065A4: D8EC0048 6E000029
	ds_read_b64 v[112:113], v41 offset:80                      // 0000000065AC: D8EC0050 70000029
	ds_read_b64 v[114:115], v41 offset:88                      // 0000000065B4: D8EC0058 72000029
	ds_read_b64 v[116:117], v41 offset:96                      // 0000000065BC: D8EC0060 74000029
	ds_read_b64 v[118:119], v41 offset:104                     // 0000000065C4: D8EC0068 76000029
	ds_read_b64 v[120:121], v41 offset:112                     // 0000000065CC: D8EC0070 78000029
	ds_read_b64 v[122:123], v41 offset:120                     // 0000000065D4: D8EC0078 7A000029
	s_waitcnt lgkmcnt(0)                                       // 0000000065DC: BF8CC07F
	buffer_store_dwordx2 v[92:93], v17, s[8:11], 0 offen       // 0000000065E0: E0741000 80025C11
	v_add_u32_e32 v17, 0x800, v17                              // 0000000065E8: 682222FF 00000800
	buffer_store_dwordx2 v[94:95], v17, s[8:11], 0 offen       // 0000000065F0: E0741000 80025E11
	v_add_u32_e32 v17, 0x800, v17                              // 0000000065F8: 682222FF 00000800
	buffer_store_dwordx2 v[96:97], v17, s[8:11], 0 offen       // 000000006600: E0741000 80026011
	v_add_u32_e32 v17, 0x800, v17                              // 000000006608: 682222FF 00000800
	buffer_store_dwordx2 v[98:99], v17, s[8:11], 0 offen       // 000000006610: E0741000 80026211
	v_add_u32_e32 v17, 0x800, v17                              // 000000006618: 682222FF 00000800
	buffer_store_dwordx2 v[100:101], v17, s[8:11], 0 offen     // 000000006620: E0741000 80026411
	v_add_u32_e32 v17, 0x800, v17                              // 000000006628: 682222FF 00000800
	buffer_store_dwordx2 v[102:103], v17, s[8:11], 0 offen     // 000000006630: E0741000 80026611
	;; [unrolled: 2-line block ×3, first 2 shown]
	v_add_u32_e32 v17, 0x800, v17                              // 000000006648: 682222FF 00000800
	buffer_store_dwordx2 v[106:107], v17, s[8:11], 0 offen     // 000000006650: E0741000 80026A11
	v_add_u32_e32 v17, 0x800, v17                              // 000000006658: 682222FF 00000800
	s_mov_b32 exec_lo, 0xff                                    // 000000006660: BEFE00FF 000000FF
	s_mov_b32 exec_hi, 0                                       // 000000006668: BEFF0080
	buffer_store_dword v42, v16, s[12:15], 0 offen             // 00000000666C: E0701000 80032A10
	s_branch label_code_exit                                   // 000000006674: BF8200CA

0000000000006678 <label_R_write_out_bf16>:
	s_waitcnt lgkmcnt(0)                                       // 000000006678: BF8CC07F
	s_barrier                                                  // 00000000667C: BF8A0000
	v_lshlrev_b32_e32 v41, 1, v0                               // 000000006680: 24520081
	s_mul_i32 s56, s7, 0x820                                   // 000000006684: 9238FF07 00000820
	v_add_u32_e32 v41, s56, v41                                // 00000000668C: 68525238
	v_lshlrev_b32_e32 v41, 2, v41                              // 000000006690: 24525282
	v_mov_b32_e32 v32, v92                                     // 000000006694: 7E40035C
	v_mov_b32_e32 v33, v96                                     // 000000006698: 7E420360
	ds_write_b64 v41, v[32:33]                                 // 00000000669C: D89A0000 00002029
	v_mov_b32_e32 v32, v100                                    // 0000000066A4: 7E400364
	v_mov_b32_e32 v33, v104                                    // 0000000066A8: 7E420368
	ds_write_b64 v41, v[32:33] offset:520                      // 0000000066AC: D89A0208 00002029
	v_mov_b32_e32 v32, v108                                    // 0000000066B4: 7E40036C
	v_mov_b32_e32 v33, v112                                    // 0000000066B8: 7E420370
	ds_write_b64 v41, v[32:33] offset:1040                     // 0000000066BC: D89A0410 00002029
	v_mov_b32_e32 v32, v116                                    // 0000000066C4: 7E400374
	v_mov_b32_e32 v33, v120                                    // 0000000066C8: 7E420378
	ds_write_b64 v41, v[32:33] offset:1560                     // 0000000066CC: D89A0618 00002029
	v_mov_b32_e32 v32, v93                                     // 0000000066D4: 7E40035D
	v_mov_b32_e32 v33, v97                                     // 0000000066D8: 7E420361
	ds_write_b64 v41, v[32:33] offset:2080                     // 0000000066DC: D89A0820 00002029
	v_mov_b32_e32 v32, v101                                    // 0000000066E4: 7E400365
	v_mov_b32_e32 v33, v105                                    // 0000000066E8: 7E420369
	ds_write_b64 v41, v[32:33] offset:2600                     // 0000000066EC: D89A0A28 00002029
	v_mov_b32_e32 v32, v109                                    // 0000000066F4: 7E40036D
	v_mov_b32_e32 v33, v113                                    // 0000000066F8: 7E420371
	ds_write_b64 v41, v[32:33] offset:3120                     // 0000000066FC: D89A0C30 00002029
	v_mov_b32_e32 v32, v117                                    // 000000006704: 7E400375
	v_mov_b32_e32 v33, v121                                    // 000000006708: 7E420379
	ds_write_b64 v41, v[32:33] offset:3640                     // 00000000670C: D89A0E38 00002029
	v_mov_b32_e32 v32, v94                                     // 000000006714: 7E40035E
	v_mov_b32_e32 v33, v98                                     // 000000006718: 7E420362
	ds_write_b64 v41, v[32:33] offset:4160                     // 00000000671C: D89A1040 00002029
	v_mov_b32_e32 v32, v102                                    // 000000006724: 7E400366
	v_mov_b32_e32 v33, v106                                    // 000000006728: 7E42036A
	ds_write_b64 v41, v[32:33] offset:4680                     // 00000000672C: D89A1248 00002029
	v_mov_b32_e32 v32, v110                                    // 000000006734: 7E40036E
	v_mov_b32_e32 v33, v114                                    // 000000006738: 7E420372
	ds_write_b64 v41, v[32:33] offset:5200                     // 00000000673C: D89A1450 00002029
	v_mov_b32_e32 v32, v118                                    // 000000006744: 7E400376
	v_mov_b32_e32 v33, v122                                    // 000000006748: 7E42037A
	ds_write_b64 v41, v[32:33] offset:5720                     // 00000000674C: D89A1658 00002029
	v_mov_b32_e32 v32, v95                                     // 000000006754: 7E40035F
	v_mov_b32_e32 v33, v99                                     // 000000006758: 7E420363
	ds_write_b64 v41, v[32:33] offset:6240                     // 00000000675C: D89A1860 00002029
	v_mov_b32_e32 v32, v103                                    // 000000006764: 7E400367
	v_mov_b32_e32 v33, v107                                    // 000000006768: 7E42036B
	ds_write_b64 v41, v[32:33] offset:6760                     // 00000000676C: D89A1A68 00002029
	v_mov_b32_e32 v32, v111                                    // 000000006774: 7E40036F
	v_mov_b32_e32 v33, v115                                    // 000000006778: 7E420373
	ds_write_b64 v41, v[32:33] offset:7280                     // 00000000677C: D89A1C70 00002029
	v_mov_b32_e32 v32, v119                                    // 000000006784: 7E400377
	v_mov_b32_e32 v33, v123                                    // 000000006788: 7E42037B
	ds_write_b64 v41, v[32:33] offset:7800                     // 00000000678C: D89A1E78 00002029
	s_waitcnt lgkmcnt(0)                                       // 000000006794: BF8CC07F
	v_lshrrev_b32_e32 v32, 4, v0                               // 000000006798: 20400084
	v_mul_i32_i24_e32 v41, 32, v32                             // 00000000679C: 0C5240A0
	v_and_b32_e32 v32, 15, v0                                  // 0000000067A0: 2640008F
	v_mul_i32_i24_e32 v33, 0x82, v32                           // 0000000067A4: 0C4240FF 00000082
	v_add_u32_e32 v41, v33, v41                                // 0000000067AC: 68525321
	s_mul_i32 s56, s7, 0x820                                   // 0000000067B0: 9238FF07 00000820
	v_add_u32_e32 v41, s56, v41                                // 0000000067B8: 68525238
	v_lshlrev_b32_e32 v41, 2, v41                              // 0000000067BC: 24525282
	ds_read_b64 v[92:93], v41                                  // 0000000067C0: D8EC0000 5C000029
	ds_read_b64 v[94:95], v41 offset:8                         // 0000000067C8: D8EC0008 5E000029
	ds_read_b64 v[96:97], v41 offset:16                        // 0000000067D0: D8EC0010 60000029
	ds_read_b64 v[98:99], v41 offset:24                        // 0000000067D8: D8EC0018 62000029
	ds_read_b64 v[100:101], v41 offset:32                      // 0000000067E0: D8EC0020 64000029
	ds_read_b64 v[102:103], v41 offset:40                      // 0000000067E8: D8EC0028 66000029
	ds_read_b64 v[104:105], v41 offset:48                      // 0000000067F0: D8EC0030 68000029
	ds_read_b64 v[106:107], v41 offset:56                      // 0000000067F8: D8EC0038 6A000029
	ds_read_b64 v[108:109], v41 offset:64                      // 000000006800: D8EC0040 6C000029
	ds_read_b64 v[110:111], v41 offset:72                      // 000000006808: D8EC0048 6E000029
	ds_read_b64 v[112:113], v41 offset:80                      // 000000006810: D8EC0050 70000029
	ds_read_b64 v[114:115], v41 offset:88                      // 000000006818: D8EC0058 72000029
	ds_read_b64 v[116:117], v41 offset:96                      // 000000006820: D8EC0060 74000029
	ds_read_b64 v[118:119], v41 offset:104                     // 000000006828: D8EC0068 76000029
	ds_read_b64 v[120:121], v41 offset:112                     // 000000006830: D8EC0070 78000029
	ds_read_b64 v[122:123], v41 offset:120                     // 000000006838: D8EC0078 7A000029
	s_waitcnt lgkmcnt(0)                                       // 000000006840: BF8CC07F
	s_lshr_b32 s56, s75, 1                                     // 000000006844: 8F38814B
	s_mul_i32 s57, s3, s56                                     // 000000006848: 92393803
	s_sub_u32 s8, s8, s57                                      // 00000000684C: 80883908
	s_subb_u32 s9, s9, 0                                       // 000000006850: 82898009
	v_lshrrev_b32_e32 v17, 1, v17                              // 000000006854: 20222281
	s_mov_b32 s52, 0x7060302                                   // 000000006858: BEB400FF 07060302
	v_add_u32_e32 v32, 0x7fff, v93                             // 000000006860: 6840BAFF 00007FFF
	v_add_u32_e32 v33, 0x7fff, v92                             // 000000006868: 6842B8FF 00007FFF
	v_perm_b32 v32, v32, v33, s52                              // 000000006870: D1ED0020 00D24320
	buffer_store_dword v32, v17, s[8:11], 0 offen              // 000000006878: E0701000 80022011
	v_add_u32_e32 v17, 0x400, v17                              // 000000006880: 682222FF 00000400
	v_add_u32_e32 v32, 0x7fff, v95                             // 000000006888: 6840BEFF 00007FFF
	v_add_u32_e32 v33, 0x7fff, v94                             // 000000006890: 6842BCFF 00007FFF
	v_perm_b32 v32, v32, v33, s52                              // 000000006898: D1ED0020 00D24320
	buffer_store_dword v32, v17, s[8:11], 0 offen              // 0000000068A0: E0701000 80022011
	v_add_u32_e32 v17, 0x400, v17                              // 0000000068A8: 682222FF 00000400
	v_add_u32_e32 v32, 0x7fff, v97                             // 0000000068B0: 6840C2FF 00007FFF
	v_add_u32_e32 v33, 0x7fff, v96                             // 0000000068B8: 6842C0FF 00007FFF
	v_perm_b32 v32, v32, v33, s52                              // 0000000068C0: D1ED0020 00D24320
	buffer_store_dword v32, v17, s[8:11], 0 offen              // 0000000068C8: E0701000 80022011
	v_add_u32_e32 v17, 0x400, v17                              // 0000000068D0: 682222FF 00000400
	v_add_u32_e32 v32, 0x7fff, v99                             // 0000000068D8: 6840C6FF 00007FFF
	v_add_u32_e32 v33, 0x7fff, v98                             // 0000000068E0: 6842C4FF 00007FFF
	v_perm_b32 v32, v32, v33, s52                              // 0000000068E8: D1ED0020 00D24320
	buffer_store_dword v32, v17, s[8:11], 0 offen              // 0000000068F0: E0701000 80022011
	v_add_u32_e32 v17, 0x400, v17                              // 0000000068F8: 682222FF 00000400
	v_add_u32_e32 v32, 0x7fff, v101                            // 000000006900: 6840CAFF 00007FFF
	v_add_u32_e32 v33, 0x7fff, v100                            // 000000006908: 6842C8FF 00007FFF
	v_perm_b32 v32, v32, v33, s52                              // 000000006910: D1ED0020 00D24320
	buffer_store_dword v32, v17, s[8:11], 0 offen              // 000000006918: E0701000 80022011
	v_add_u32_e32 v17, 0x400, v17                              // 000000006920: 682222FF 00000400
	v_add_u32_e32 v32, 0x7fff, v103                            // 000000006928: 6840CEFF 00007FFF
	v_add_u32_e32 v33, 0x7fff, v102                            // 000000006930: 6842CCFF 00007FFF
	v_perm_b32 v32, v32, v33, s52                              // 000000006938: D1ED0020 00D24320
	buffer_store_dword v32, v17, s[8:11], 0 offen              // 000000006940: E0701000 80022011
	v_add_u32_e32 v17, 0x400, v17                              // 000000006948: 682222FF 00000400
	v_add_u32_e32 v32, 0x7fff, v105                            // 000000006950: 6840D2FF 00007FFF
	v_add_u32_e32 v33, 0x7fff, v104                            // 000000006958: 6842D0FF 00007FFF
	v_perm_b32 v32, v32, v33, s52                              // 000000006960: D1ED0020 00D24320
	buffer_store_dword v32, v17, s[8:11], 0 offen              // 000000006968: E0701000 80022011
	v_add_u32_e32 v17, 0x400, v17                              // 000000006970: 682222FF 00000400
	v_add_u32_e32 v32, 0x7fff, v107                            // 000000006978: 6840D6FF 00007FFF
	v_add_u32_e32 v33, 0x7fff, v106                            // 000000006980: 6842D4FF 00007FFF
	v_perm_b32 v32, v32, v33, s52                              // 000000006988: D1ED0020 00D24320
	buffer_store_dword v32, v17, s[8:11], 0 offen              // 000000006990: E0701000 80022011
	v_add_u32_e32 v17, 0x400, v17                              // 000000006998: 682222FF 00000400

00000000000069a0 <label_code_exit>:
	s_waitcnt vmcnt(0) expcnt(0) lgkmcnt(0)                    // 0000000069A0: BF8C0000
	s_endpgm                                                   // 0000000069A4: BF810000
